;; amdgpu-corpus repo=ROCm/aiter kind=harvested arch=n/a opt=n/a

/root/src/amdgpu-assembly/repos/ROCm__aiter/hsa/gfx942/fmha_v3_bwd/bwd_hd128_bf16_causal_a16_rtz.co:	file format elf64-amdgpu

Disassembly of section .text:

0000000000003e00 <_ZN5aiter34fmha_bwd_hd128_bf16_causal_a16_rtzE>:
	s_and_b32 s1, s1, 0xffff                                   // 000000003E00: 8601FF01 0000FFFF
	s_load_dwordx2 s[32:33], s[0:1], 0x0                       // 000000003E08: C0060800 00000000
	s_load_dwordx2 s[36:37], s[0:1], 0x10                      // 000000003E10: C0060900 00000010
	s_load_dwordx2 s[40:41], s[0:1], 0x20                      // 000000003E18: C0060A00 00000020
	s_load_dwordx2 s[8:9], s[0:1], 0x30                        // 000000003E20: C0060200 00000030
	s_load_dwordx2 s[12:13], s[0:1], 0x40                      // 000000003E28: C0060300 00000040
	s_load_dwordx2 s[16:17], s[0:1], 0x50                      // 000000003E30: C0060400 00000050
	s_load_dwordx2 s[20:21], s[0:1], 0x60                      // 000000003E38: C0060500 00000060
	s_load_dwordx2 s[24:25], s[0:1], 0x70                      // 000000003E40: C0060600 00000070
	s_load_dwordx2 s[28:29], s[0:1], 0x80                      // 000000003E48: C0060700 00000080
	s_load_dword s48, s[0:1], 0x90                             // 000000003E50: C0020C00 00000090
	s_load_dword s49, s[0:1], 0xa0                             // 000000003E58: C0020C40 000000A0
	s_load_dword s50, s[0:1], 0xb0                             // 000000003E60: C0020C80 000000B0
	s_load_dword s51, s[0:1], 0xc0                             // 000000003E68: C0020CC0 000000C0
	s_load_dword s52, s[0:1], 0xd0                             // 000000003E70: C0020D00 000000D0
	s_load_dword s53, s[0:1], 0xe0                             // 000000003E78: C0020D40 000000E0
	s_load_dword s70, s[0:1], 0xf0                             // 000000003E80: C0021180 000000F0
	s_load_dword s44, s[0:1], 0x100                            // 000000003E88: C0020B00 00000100
	s_load_dword s5, s[0:1], 0x110                             // 000000003E90: C0020140 00000110
	s_load_dword s6, s[0:1], 0x120                             // 000000003E98: C0020180 00000120
	s_load_dword s7, s[0:1], 0x130                             // 000000003EA0: C00201C0 00000130
	s_load_dword s46, s[0:1], 0x140                            // 000000003EA8: C0020B80 00000140
	s_load_dword s93, s[0:1], 0x180                            // 000000003EB0: C0021740 00000180
	s_load_dword s92, s[0:1], 0x240                            // 000000003EB8: C0021700 00000240
	v_lshrrev_b32_e32 v1, 10, v0                               // 000000003EC0: 2002008A
	v_lshrrev_b32_e32 v2, 10, v1                               // 000000003EC4: 2004028A
	v_and_b32_e32 v2, 0x3ff, v2                                // 000000003EC8: 260404FF 000003FF
	v_and_b32_e32 v1, 0x3ff, v1                                // 000000003ED0: 260202FF 000003FF
	v_and_b32_e32 v0, 0x3ff, v0                                // 000000003ED8: 260000FF 000003FF
	v_lshrrev_b32_e32 v3, 6, v0                                // 000000003EE0: 20060086
	v_and_b32_e32 v0, 63, v0                                   // 000000003EE4: 260000BF
	s_mov_b32 s2, s2                                           // 000000003EE8: BE820002
	s_mov_b32 s3, s3                                           // 000000003EEC: BE830003
	s_mov_b32 s4, s4                                           // 000000003EF0: BE840004
	v_readfirstlane_b32 s47, v3                                // 000000003EF4: 7E5E0503
	s_waitcnt lgkmcnt(0)                                       // 000000003EF8: BF8CC07F
	s_mov_b32 s10, 0x80000000                                  // 000000003EFC: BE8A00FF 80000000
	s_mov_b32 s14, 0x80000000                                  // 000000003F04: BE8E00FF 80000000
	s_mov_b32 s18, 0x80000000                                  // 000000003F0C: BE9200FF 80000000
	s_mov_b32 s22, 0x80000000                                  // 000000003F14: BE9600FF 80000000
	s_mov_b32 s26, 0x80000000                                  // 000000003F1C: BE9A00FF 80000000
	s_mov_b32 s30, 0x80000000                                  // 000000003F24: BE9E00FF 80000000
	s_mov_b32 s38, 0x80000000                                  // 000000003F2C: BEA600FF 80000000
	s_mov_b32 s42, 0x80000000                                  // 000000003F34: BEAA00FF 80000000
	s_mov_b32 s11, 0x20000                                     // 000000003F3C: BE8B00FF 00020000
	s_mov_b32 s15, 0x20000                                     // 000000003F44: BE8F00FF 00020000
	s_mov_b32 s19, 0x20000                                     // 000000003F4C: BE9300FF 00020000
	s_mov_b32 s23, 0x20000                                     // 000000003F54: BE9700FF 00020000
	s_mov_b32 s27, 0x20000                                     // 000000003F5C: BE9B00FF 00020000
	s_mov_b32 s31, 0x20000                                     // 000000003F64: BE9F00FF 00020000
	s_mov_b32 s39, 0x20000                                     // 000000003F6C: BEA700FF 00020000
	s_mov_b32 s43, 0x20000                                     // 000000003F74: BEAB00FF 00020000
	s_and_b32 s9, s9, 0xffff                                   // 000000003F7C: 8609FF09 0000FFFF
	s_and_b32 s13, s13, 0xffff                                 // 000000003F84: 860DFF0D 0000FFFF
	s_and_b32 s17, s17, 0xffff                                 // 000000003F8C: 8611FF11 0000FFFF
	s_and_b32 s21, s21, 0xffff                                 // 000000003F94: 8615FF15 0000FFFF
	s_and_b32 s25, s25, 0xffff                                 // 000000003F9C: 8619FF19 0000FFFF
	s_and_b32 s29, s29, 0xffff                                 // 000000003FA4: 861DFF1D 0000FFFF
	s_and_b32 s37, s37, 0xffff                                 // 000000003FAC: 8625FF25 0000FFFF
	s_and_b32 s41, s41, 0xffff                                 // 000000003FB4: 8629FF29 0000FFFF
	s_or_b32 s9, s9, 0x40000                                   // 000000003FBC: 8709FF09 00040000
	s_or_b32 s13, s13, 0x40000                                 // 000000003FC4: 870DFF0D 00040000
	s_or_b32 s17, s17, 0x40000                                 // 000000003FCC: 8711FF11 00040000
	s_or_b32 s21, s21, 0x40000                                 // 000000003FD4: 8715FF15 00040000
	s_or_b32 s25, s25, 0x40000                                 // 000000003FDC: 8719FF19 00040000
	s_or_b32 s29, s29, 0x40000                                 // 000000003FE4: 871DFF1D 00040000
	s_or_b32 s37, s37, 0x40000                                 // 000000003FEC: 8725FF25 00040000
	s_or_b32 s41, s41, 0x40000                                 // 000000003FF4: 8729FF29 00040000
	v_accvgpr_write_b32 a255, 0                                // 000000003FFC: D3D940FF 18000080
	v_mov_b32_e32 v251, 0                                      // 000000004004: 7FF60280
	s_mov_b32 s82, s8                                          // 000000004008: BED20008
	s_mov_b32 s84, s12                                         // 00000000400C: BED4000C
	s_mov_b32 s86, s16                                         // 000000004010: BED60010
	s_mov_b32 s88, s20                                         // 000000004014: BED80014
	s_mov_b32 s90, s32                                         // 000000004018: BEDA0020
	s_mov_b32 s83, s9                                          // 00000000401C: BED30009
	s_mov_b32 s85, s13                                         // 000000004020: BED5000D
	s_mov_b32 s87, s17                                         // 000000004024: BED70011
	s_mov_b32 s89, s21                                         // 000000004028: BED90015
	s_mov_b32 s91, s33                                         // 00000000402C: BEDB0021
	s_mov_b32 s71, s3                                          // 000000004030: BEC70003
	v_cvt_f32_u32_e32 v28, s44                                 // 000000004034: 7E380C2C
	s_sub_i32 s60, 0, s44                                      // 000000004038: 81BC2C80
	v_rcp_iflag_f32_e32 v28, v28                               // 00000000403C: 7E38471C
	s_nop 0                                                    // 000000004040: BF800000
	v_mul_f32_e32 v28, 0x4f7ffffe, v28                         // 000000004044: 0A3838FF 4F7FFFFE
	v_cvt_u32_f32_e32 v28, v28                                 // 00000000404C: 7E380F1C
	v_mul_lo_u32 v29, s60, v28                                 // 000000004050: D285001D 0002383C
	v_mul_hi_u32 v29, v28, v29                                 // 000000004058: D286001D 00023B1C
	v_add_u32_e32 v28, v28, v29                                // 000000004060: 68383B1C
	v_mul_hi_u32 v28, s71, v28                                 // 000000004064: D286001C 00023847
	v_mul_lo_u32 v29, v28, s44                                 // 00000000406C: D285001D 0000591C
	v_sub_u32_e32 v31, s71, v29                                // 000000004074: 6A3E3A47
	v_add_u32_e32 v30, 1, v28                                  // 000000004078: 683C3881
	v_cmp_le_u32_e32 vcc, s44, v31                             // 00000000407C: 7D963E2C
	v_subrev_u32_e32 v29, s44, v31                             // 000000004080: 6C3A3E2C
	s_nop 0                                                    // 000000004084: BF800000
	v_cndmask_b32_e32 v28, v28, v30, vcc                       // 000000004088: 00383D1C
	v_cndmask_b32_e32 v31, v31, v29, vcc                       // 00000000408C: 003E3B1F
	v_add_u32_e32 v29, 1, v28                                  // 000000004090: 683A3881
	v_cmp_le_u32_e32 vcc, s44, v31                             // 000000004094: 7D963E2C
	s_nop 1                                                    // 000000004098: BF800001
	v_cndmask_b32_e32 v31, v28, v29, vcc                       // 00000000409C: 003E3B1C
	s_nop 3                                                    // 0000000040A0: BF800003
	v_readfirstlane_b32 s45, v31                               // 0000000040A4: 7E5A051F
	s_nop 3                                                    // 0000000040A8: BF800003
	s_add_u32 s71, 0x80, s50                                   // 0000000040AC: 804732FF 00000080
	s_mov_b32 s74, 0xc0                                        // 0000000040B4: BECA00FF 000000C0
	v_cvt_f32_u32_e32 v28, s74                                 // 0000000040BC: 7E380C4A
	s_sub_i32 s60, 0, s74                                      // 0000000040C0: 81BC4A80
	v_rcp_iflag_f32_e32 v28, v28                               // 0000000040C4: 7E38471C
	s_nop 0                                                    // 0000000040C8: BF800000
	v_mul_f32_e32 v28, 0x4f7ffffe, v28                         // 0000000040CC: 0A3838FF 4F7FFFFE
	v_cvt_u32_f32_e32 v28, v28                                 // 0000000040D4: 7E380F1C
	v_mul_lo_u32 v29, s60, v28                                 // 0000000040D8: D285001D 0002383C
	v_mul_hi_u32 v29, v28, v29                                 // 0000000040E0: D286001D 00023B1C
	v_add_u32_e32 v28, v28, v29                                // 0000000040E8: 68383B1C
	v_mul_hi_u32 v28, s71, v28                                 // 0000000040EC: D286001C 00023847
	v_mul_lo_u32 v29, v28, s74                                 // 0000000040F4: D285001D 0000951C
	v_sub_u32_e32 v31, s71, v29                                // 0000000040FC: 6A3E3A47
	v_add_u32_e32 v30, 1, v28                                  // 000000004100: 683C3881
	v_cmp_le_u32_e32 vcc, s74, v31                             // 000000004104: 7D963E4A
	v_subrev_u32_e32 v29, s74, v31                             // 000000004108: 6C3A3E4A
	s_nop 0                                                    // 00000000410C: BF800000
	v_cndmask_b32_e32 v28, v28, v30, vcc                       // 000000004110: 00383D1C
	v_cndmask_b32_e32 v31, v31, v29, vcc                       // 000000004114: 003E3B1F
	v_add_u32_e32 v29, 1, v28                                  // 000000004118: 683A3881
	v_cmp_le_u32_e32 vcc, s74, v31                             // 00000000411C: 7D963E4A
	s_nop 1                                                    // 000000004120: BF800001
	v_cndmask_b32_e32 v31, v28, v29, vcc                       // 000000004124: 003E3B1C
	s_nop 3                                                    // 000000004128: BF800003
	v_readfirstlane_b32 s77, v31                               // 00000000412C: 7E9A051F
	s_nop 3                                                    // 000000004130: BF800003
	v_mov_b32_e32 v28, s48                                     // 000000004134: 7E380230
	v_mul_f32_e32 v28, s49, v28                                // 000000004138: 0A383831
	s_mov_b32 s66, 0                                           // 00000000413C: BEC20080
	s_mov_b32 s58, s50                                         // 000000004140: BEBA0032
	s_mov_b32 s59, 0                                           // 000000004144: BEBB0080
	s_mov_b32 s63, 0x5040100                                   // 000000004148: BEBF00FF 05040100
	s_mov_b32 s64, 0x7060302                                   // 000000004150: BEC000FF 07060302
	v_readfirstlane_b32 s57, v28                               // 000000004158: 7E72051C
	v_mov_b32_e32 v30, 0x3020706                               // 00000000415C: 7E3C02FF 03020706
	v_mov_b32_e32 v28, s63                                     // 000000004164: 7E38023F
	v_and_b32_e32 v29, 1, v0                                   // 000000004168: 263A0081
	v_cmp_eq_u32_e32 vcc, 1, v29                               // 00000000416C: 7D943A81
	s_mul_i32 s67, 16, s70                                     // 000000004170: 92434690
	v_cndmask_b32_e32 v17, v28, v30, vcc                       // 000000004174: 00223D1C
	v_mov_b32_e32 v249, 0xffff0000                             // 000000004178: 7FF202FF FFFF0000
	v_mov_b32_e32 v250, 0x7fff0000                             // 000000004180: 7FF402FF 7FFF0000
	v_mov_b32_e32 v251, 0x7fff                                 // 000000004188: 7FF602FF 00007FFF
	s_cmp_lt_u32 s47, 2                                        // 000000004190: BF0A822F
	s_cselect_b32 s24, s24, s28                                // 000000004194: 85181C18
	s_cselect_b32 s25, s25, s29                                // 000000004198: 85191D19
	s_cselect_b32 s26, s26, s30                                // 00000000419C: 851A1E1A
	s_cselect_b32 s27, s27, s31                                // 0000000041A0: 851B1F1B
	s_lshr_b32 s60, s47, 1                                     // 0000000041A4: 8F3C812F
	s_lshl_b32 s60, s60, 8                                     // 0000000041A8: 8E3C883C
	s_add_u32 s80, 0xc600, s60                                 // 0000000041AC: 80503CFF 0000C600
	s_add_u32 s81, 0x200, s80                                  // 0000000041B4: 805150FF 00000200
	s_mov_b32 s75, 0                                           // 0000000041BC: BECB0080
	s_mov_b32 s76, 1                                           // 0000000041C0: BECC0081
	s_lshl_b32 s60, s2, 1                                      // 0000000041C4: 8E3C8102
	s_add_u32 s60, 1, s60                                      // 0000000041C8: 803C3C81
	s_mul_i32 s60, 0xc0, s60                                   // 0000000041CC: 923C3CFF 000000C0
	s_cmp_ge_i32 s60, s50                                      // 0000000041D4: BF03323C
	s_cselect_b32 s76, s76, 2                                  // 0000000041D8: 854C824C

00000000000041dc <label_00F7>:
	s_mov_b32 m0, s80                                          // 0000000041DC: BEFC0050
	s_mov_b32 s66, 0                                           // 0000000041E0: BEC20080
	v_mov_b32_e32 v151, 0xff800000                             // 0000000041E4: 7F2E02FF FF800000
	s_mov_b32 s74, 0                                           // 0000000041EC: BECA0080
	s_mul_i32 s68, 16, s70                                     // 0000000041F0: 92444690
	s_mov_b32 s69, 16                                          // 0000000041F4: BEC50090
	s_mul_i32 s60, s2, s51                                     // 0000000041F8: 923C3302
	s_mul_i32 s61, s45, s5                                     // 0000000041FC: 923D052D
	s_mul_i32 s62, s4, s6                                      // 000000004200: 923E0604
	s_add_u32 s54, s60, s61                                    // 000000004204: 80363D3C
	s_add_u32 s54, s54, s62                                    // 000000004208: 80363E36
	s_mul_i32 s61, s3, s52                                     // 00000000420C: 923D3403
	s_mul_i32 s62, s4, s53                                     // 000000004210: 923E3504
	s_add_u32 s55, s61, s62                                    // 000000004214: 80373E3D
	s_mul_i32 s60, 0xc0, s2                                    // 000000004218: 923C02FF 000000C0
	s_mul_i32 s60, s70, s60                                    // 000000004220: 923C3C46
	s_add_u32 s55, s60, s55                                    // 000000004224: 8037373C
	s_mov_b32 s56, s55                                         // 000000004228: BEB80037
	s_mul_i32 s59, 0xc0, s2                                    // 00000000422C: 923B02FF 000000C0
	s_add_u32 s73, 16, s59                                     // 000000004234: 80493B90
	s_mul_i32 s62, s4, s93                                     // 000000004238: 923E5D04
	s_mul_i32 s62, s62, s92                                    // 00000000423C: 923E5C3E
	s_mul_i32 s61, s3, s92                                     // 000000004240: 923D5C03
	s_add_u32 s65, s61, s62                                    // 000000004244: 80413E3D
	s_mul_i32 s60, 0x300, s2                                   // 000000004248: 923C02FF 00000300
	s_add_u32 s65, s60, s65                                    // 000000004250: 8041413C
	s_mov_b32 s71, s7                                          // 000000004254: BEC70007
	v_lshrrev_b32_e32 v28, 4, v0                               // 000000004258: 20380084
	v_and_b32_e32 v29, 1, v28                                  // 00000000425C: 263A3881
	v_lshlrev_b32_e32 v29, 1, v29                              // 000000004260: 243A3A81
	v_mul_i32_i24_e32 v29, s71, v29                            // 000000004264: 0C3A3A47
	v_and_b32_e32 v30, 2, v28                                  // 000000004268: 263C3882
	v_lshlrev_b32_e32 v30, 5, v30                              // 00000000426C: 243C3C85
	v_add_u32_e32 v29, v30, v29                                // 000000004270: 683A3B1E
	v_and_b32_e32 v28, 15, v0                                  // 000000004274: 2638008F
	v_lshlrev_b32_e32 v28, 2, v28                              // 000000004278: 24383882
	v_add_u32_e32 v1, v28, v29                                 // 00000000427C: 68023B1C
	s_and_b32 s60, 1, s47                                      // 000000004280: 863C2F81
	s_mul_i32 s60, s60, s71                                    // 000000004284: 923C473C
	s_mul_i32 s60, s60, 8                                      // 000000004288: 923C883C
	s_lshr_b32 s61, s47, 1                                     // 00000000428C: 8F3D812F
	s_mul_i32 s61, s61, 0x80                                   // 000000004290: 923DFF3D 00000080
	s_add_u32 s60, s60, s61                                    // 000000004298: 803C3D3C
	v_add_u32_e32 v1, s60, v1                                  // 00000000429C: 6802023C
	v_add_u32_e32 v2, s71, v1                                  // 0000000042A0: 68040247
	s_mul_i32 s60, 4, s71                                      // 0000000042A4: 923C4784
	v_add_u32_e32 v3, s60, v1                                  // 0000000042A8: 6806023C
	v_add_u32_e32 v4, s60, v2                                  // 0000000042AC: 6808043C
	v_lshrrev_b32_e32 v1, 2, v1                                // 0000000042B0: 20020282
	v_lshrrev_b32_e32 v2, 2, v2                                // 0000000042B4: 20040482
	v_lshrrev_b32_e32 v3, 2, v3                                // 0000000042B8: 20060682
	v_lshrrev_b32_e32 v4, 2, v4                                // 0000000042BC: 20080882
	s_add_u32 s12, s54, s84                                    // 0000000042C0: 800C5436
	s_addc_u32 s13, 0, s85                                     // 0000000042C4: 820D5580
	s_add_u32 s16, s54, s86                                    // 0000000042C8: 80105636
	s_addc_u32 s17, 0, s87                                     // 0000000042CC: 82115780
	s_add_u32 s8, s55, s82                                     // 0000000042D0: 80085237
	s_addc_u32 s9, 0, s83                                      // 0000000042D4: 82095380
	s_add_u32 s20, s56, s88                                    // 0000000042D8: 80145838
	s_addc_u32 s21, 0, s89                                     // 0000000042DC: 82155980
	v_and_b32_e32 v11, 15, v0                                  // 0000000042E0: 2616008F
	v_lshlrev_b32_e32 v11, 2, v11                              // 0000000042E4: 24161682
	v_add_u32_e32 v11, s65, v11                                // 0000000042E8: 68161641
	v_lshrrev_b32_e32 v11, 2, v11                              // 0000000042EC: 20161682
	v_lshrrev_b32_e32 v28, 4, v0                               // 0000000042F0: 20380084
	v_mul_i32_i24_e32 v5, s46, v28                             // 0000000042F4: 0C0A382E
	v_lshrrev_b32_e32 v5, 2, v5                                // 0000000042F8: 200A0A82
	v_and_b32_e32 v28, 15, v0                                  // 0000000042FC: 2638008F
	v_lshlrev_b32_e32 v29, 2, v28                              // 000000004300: 243A3882
	v_add_u32_e32 v5, v29, v5                                  // 000000004304: 680A0B1D
	s_mul_i32 s60, 16, s46                                     // 000000004308: 923C2E90
	s_mul_i32 s60, s47, s60                                    // 00000000430C: 923C3C2F
	v_lshlrev_b32_e32 v5, 2, v5                                // 000000004310: 240A0A82
	v_add_u32_e32 v5, s60, v5                                  // 000000004314: 680A0A3C
	s_mul_i32 s60, 0xc0, s46                                   // 000000004318: 923C2EFF 000000C0
	s_mul_i32 s60, s2, s60                                     // 000000004320: 923C3C02
	s_mul_i32 s61, s3, s5                                      // 000000004324: 923D0503
	s_mul_i32 s62, s4, s6                                      // 000000004328: 923E0604
	s_mul_i32 s62, s62, s44                                    // 00000000432C: 923E2C3E
	s_add_u32 s60, s60, s61                                    // 000000004330: 803C3D3C
	s_add_u32 s60, s60, s62                                    // 000000004334: 803C3E3C
	v_add_u32_e32 v5, s60, v5                                  // 000000004338: 680A0A3C
	v_lshrrev_b32_e32 v5, 2, v5                                // 00000000433C: 200A0A82
	v_mov_b32_e32 v10, v5                                      // 000000004340: 7E140305
	v_lshrrev_b32_e32 v28, 5, v0                               // 000000004344: 20380085
	v_mul_i32_i24_e32 v6, s70, v28                             // 000000004348: 0C0C3846
	v_lshrrev_b32_e32 v6, 2, v6                                // 00000000434C: 200C0C82
	v_and_b32_e32 v28, 31, v0                                  // 000000004350: 2638009F
	v_add_u32_e32 v6, v28, v6                                  // 000000004354: 680C0D1C
	s_mul_i32 s60, s47, s70                                    // 000000004358: 923C462F
	v_add_u32_e32 v6, s60, v6                                  // 00000000435C: 680C0C3C
	v_lshlrev_b32_e32 v6, 2, v6                                // 000000004360: 240C0C82
	s_mul_i32 s60, 2, s70                                      // 000000004364: 923C4682
	v_add_u32_e32 v7, s60, v6                                  // 000000004368: 680E0C3C
	s_mov_b32 s60, s55                                         // 00000000436C: BEBC0037
	v_add_u32_e32 v6, s60, v6                                  // 000000004370: 680C0C3C
	v_add_u32_e32 v8, s60, v7                                  // 000000004374: 68100E3C
	v_mov_b32_e32 v7, 0                                        // 000000004378: 7E0E0280
	v_mov_b32_e32 v9, 0                                        // 00000000437C: 7E120280
	s_mul_i32 s60, 3, s2                                       // 000000004380: 923C0283
	s_lshr_b32 s61, s50, 6                                     // 000000004384: 8F3D8632
	s_sub_i32 s72, s61, s60                                    // 000000004388: 81C83C3D
	s_cmp_lt_i32 s72, 3                                        // 00000000438C: BF048348
	s_cselect_b32 s72, s72, 3                                  // 000000004390: 85488348
	v_and_b32_e32 v28, 31, v0                                  // 000000004394: 2638009F
	v_lshrrev_b32_e32 v28, 1, v28                              // 000000004398: 20383881
	v_and_b32_e32 v29, 1, v28                                  // 00000000439C: 263A3881
	v_lshlrev_b32_e32 v29, 4, v29                              // 0000000043A0: 243A3A84
	v_and_b32_e32 v30, 2, v28                                  // 0000000043A4: 263C3882
	v_lshlrev_b32_e32 v30, 2, v30                              // 0000000043A8: 243C3C82
	v_add_u32_e32 v29, v30, v29                                // 0000000043AC: 683A3B1E
	v_and_b32_e32 v30, 12, v28                                 // 0000000043B0: 263C388C
	v_lshrrev_b32_e32 v30, 1, v30                              // 0000000043B4: 203C3C81
	v_add_u32_e32 v29, v30, v29                                // 0000000043B8: 683A3B1E
	v_lshrrev_b32_e32 v28, 5, v0                               // 0000000043BC: 20380085
	v_mul_i32_i24_e32 v30, 0x80, v28                           // 0000000043C0: 0C3C38FF 00000080
	v_add_u32_e32 v29, v30, v29                                // 0000000043C8: 683A3B1E
	v_and_b32_e32 v30, 1, v0                                   // 0000000043CC: 263C0081
	v_add_u32_e32 v13, v30, v29                                // 0000000043D0: 681A3B1E
	s_and_b32 s60, 1, s47                                      // 0000000043D4: 863C2F81
	s_mul_i32 s60, s60, 64                                     // 0000000043D8: 923CC03C
	s_lshr_b32 s61, s47, 1                                     // 0000000043DC: 8F3D812F
	s_mul_i32 s61, s61, 0x220                                  // 0000000043E0: 923DFF3D 00000220
	s_add_u32 s60, s60, s61                                    // 0000000043E8: 803C3D3C
	v_add_u32_e32 v13, s60, v13                                // 0000000043EC: 681A1A3C
	v_lshlrev_b32_e32 v13, 2, v13                              // 0000000043F0: 241A1A82
	v_lshrrev_b32_e32 v28, 4, v0                               // 0000000043F4: 20380084
	v_and_b32_e32 v29, 1, v28                                  // 0000000043F8: 263A3881
	v_lshlrev_b32_e32 v29, 4, v29                              // 0000000043FC: 243A3A84
	v_and_b32_e32 v30, 2, v28                                  // 000000004400: 263C3882
	v_mul_i32_i24_e32 v30, 4, v30                              // 000000004404: 0C3C3C84
	v_add_u32_e32 v29, v30, v29                                // 000000004408: 683A3B1E
	v_and_b32_e32 v28, 15, v0                                  // 00000000440C: 2638008F
	v_lshrrev_b32_e32 v30, 2, v28                              // 000000004410: 203C3882
	v_lshlrev_b32_e32 v30, 5, v30                              // 000000004414: 243C3C85
	v_add_u32_e32 v29, v30, v29                                // 000000004418: 683A3B1E
	v_and_b32_e32 v28, 3, v0                                   // 00000000441C: 26380083
	v_and_b32_e32 v30, 1, v28                                  // 000000004420: 263C3881
	v_mul_i32_i24_e32 v30, 0x108, v30                          // 000000004424: 0C3C3CFF 00000108
	v_add_u32_e32 v29, v30, v29                                // 00000000442C: 683A3B1E
	v_and_b32_e32 v30, 2, v28                                  // 000000004430: 263C3882
	v_lshlrev_b32_e32 v30, 1, v30                              // 000000004434: 243C3C81
	v_add_u32_e32 v12, v30, v29                                // 000000004438: 68183B1E
	v_lshlrev_b32_e32 v12, 2, v12                              // 00000000443C: 24181882
	s_mul_i32 s60, s47, 0x1100                                 // 000000004440: 923CFF2F 00001100
	v_add_u32_e32 v24, s60, v12                                // 000000004448: 6830183C
	v_lshrrev_b32_e32 v28, 5, v0                               // 00000000444C: 20380085
	v_mul_i32_i24_e32 v15, 0x80, v28                           // 000000004450: 0C1E38FF 00000080
	v_and_b32_e32 v28, 31, v0                                  // 000000004458: 2638009F
	v_and_b32_e32 v29, 7, v28                                  // 00000000445C: 263A3887
	v_and_b32_e32 v30, 1, v29                                  // 000000004460: 263C3A81
	v_lshlrev_b32_e32 v30, 2, v30                              // 000000004464: 243C3C82
	v_add_u32_e32 v15, v30, v15                                // 000000004468: 681E1F1E
	v_and_b32_e32 v30, 2, v29                                  // 00000000446C: 263C3A82
	v_lshlrev_b32_e32 v30, 3, v30                              // 000000004470: 243C3C83
	v_add_u32_e32 v15, v30, v15                                // 000000004474: 681E1F1E
	v_and_b32_e32 v30, 4, v29                                  // 000000004478: 263C3A84
	v_lshlrev_b32_e32 v30, 1, v30                              // 00000000447C: 243C3C81
	v_add_u32_e32 v15, v30, v15                                // 000000004480: 681E1F1E
	v_lshrrev_b32_e32 v29, 3, v28                              // 000000004484: 203A3883
	v_and_b32_e32 v30, 1, v29                                  // 000000004488: 263C3A81
	v_lshlrev_b32_e32 v30, 1, v30                              // 00000000448C: 243C3C81
	v_add_u32_e32 v15, v30, v15                                // 000000004490: 681E1F1E
	v_and_b32_e32 v30, 2, v29                                  // 000000004494: 263C3A82
	v_lshrrev_b32_e32 v30, 1, v30                              // 000000004498: 203C3C81
	v_add_u32_e32 v15, v30, v15                                // 00000000449C: 681E1F1E
	s_and_b32 s60, 1, s47                                      // 0000000044A0: 863C2F81
	s_mul_i32 s60, s60, 64                                     // 0000000044A4: 923CC03C
	s_lshr_b32 s61, s47, 1                                     // 0000000044A8: 8F3D812F
	s_mul_i32 s61, s61, 0x220                                  // 0000000044AC: 923DFF3D 00000220
	s_add_u32 s60, s60, s61                                    // 0000000044B4: 803C3D3C
	v_add_u32_e32 v15, s60, v15                                // 0000000044B8: 681E1E3C
	v_lshlrev_b32_e32 v15, 2, v15                              // 0000000044BC: 241E1E82
	v_and_b32_e32 v28, 15, v0                                  // 0000000044C0: 2638008F
	v_and_b32_e32 v30, 1, v28                                  // 0000000044C4: 263C3881
	v_mul_i32_i24_e32 v14, 0x108, v30                          // 0000000044C8: 0C1C3CFF 00000108
	v_and_b32_e32 v30, 2, v28                                  // 0000000044D0: 263C3882
	v_lshlrev_b32_e32 v30, 1, v30                              // 0000000044D4: 243C3C81
	v_add_u32_e32 v14, v30, v14                                // 0000000044D8: 681C1D1E
	v_and_b32_e32 v30, 4, v28                                  // 0000000044DC: 263C3884
	v_lshlrev_b32_e32 v30, 2, v30                              // 0000000044E0: 243C3C82
	v_add_u32_e32 v14, v30, v14                                // 0000000044E4: 681C1D1E
	v_and_b32_e32 v30, 8, v28                                  // 0000000044E8: 263C3888
	v_add_u32_e32 v14, v30, v14                                // 0000000044EC: 681C1D1E
	v_lshrrev_b32_e32 v28, 4, v0                               // 0000000044F0: 20380084
	v_and_b32_e32 v30, 1, v28                                  // 0000000044F4: 263C3881
	v_lshlrev_b32_e32 v30, 5, v30                              // 0000000044F8: 243C3C85
	v_add_u32_e32 v14, v30, v14                                // 0000000044FC: 681C1D1E
	v_and_b32_e32 v29, 2, v28                                  // 000000004500: 263A3882
	v_mul_i32_i24_e32 v30, 32, v29                             // 000000004504: 0C3C3AA0
	v_mul_i32_i24_e32 v29, 0x220, v29                          // 000000004508: 0C3A3AFF 00000220
	v_add_u32_e32 v25, v29, v14                                // 000000004510: 68321D1D
	v_add_u32_e32 v14, v30, v14                                // 000000004514: 681C1D1E
	v_lshlrev_b32_e32 v14, 2, v14                              // 000000004518: 241C1C82
	v_lshlrev_b32_e32 v25, 2, v25                              // 00000000451C: 24323282
	s_and_b32 s60, 1, s47                                      // 000000004520: 863C2F81
	s_mul_i32 s60, s60, 0x200                                  // 000000004524: 923CFF3C 00000200
	s_lshr_b32 s61, s47, 1                                     // 00000000452C: 8F3D812F
	s_mul_i32 s61, s61, 0x880                                  // 000000004530: 923DFF3D 00000880
	s_add_u32 s60, s60, s61                                    // 000000004538: 803C3D3C
	v_add_u32_e32 v25, s60, v25                                // 00000000453C: 6832323C
	v_lshrrev_b32_e32 v28, 4, v0                               // 000000004540: 20380084
	v_mul_i32_i24_e32 v23, 4, v28                              // 000000004544: 0C2E3884
	v_and_b32_e32 v29, 3, v0                                   // 000000004548: 263A0083
	v_add_u32_e32 v23, v29, v23                                // 00000000454C: 682E2F1D
	v_lshlrev_b32_e32 v23, 2, v23                              // 000000004550: 242E2E82
	v_lshrrev_b32_e32 v28, 5, v0                               // 000000004554: 20380085
	v_mul_i32_i24_e32 v21, 2, v28                              // 000000004558: 0C2A3882
	v_and_b32_e32 v28, 31, v0                                  // 00000000455C: 2638009F
	v_lshrrev_b32_e32 v28, 1, v28                              // 000000004560: 20383881
	v_mul_i32_i24_e32 v29, 34, v28                             // 000000004564: 0C3A38A2
	v_add_u32_e32 v21, v29, v21                                // 000000004568: 682A2B1D
	v_and_b32_e32 v29, 1, v0                                   // 00000000456C: 263A0081
	v_add_u32_e32 v21, v29, v21                                // 000000004570: 682A2B1D
	s_mul_i32 s60, s47, 8                                      // 000000004574: 923C882F
	v_add_u32_e32 v21, s60, v21                                // 000000004578: 682A2A3C
	v_lshlrev_b32_e32 v21, 2, v21                              // 00000000457C: 242A2A82
	v_lshrrev_b32_e32 v28, 4, v0                               // 000000004580: 20380084
	v_mul_i32_i24_e32 v22, 34, v28                             // 000000004584: 0C2C38A2
	v_and_b32_e32 v28, 15, v0                                  // 000000004588: 2638008F
	v_mul_i32_i24_e32 v29, 2, v28                              // 00000000458C: 0C3A3882
	v_add_u32_e32 v22, v29, v22                                // 000000004590: 682C2D1D
	s_mul_i32 s60, s47, 0x110                                  // 000000004594: 923CFF2F 00000110
	v_add_u32_e32 v22, s60, v22                                // 00000000459C: 682C2C3C
	v_lshlrev_b32_e32 v22, 2, v22                              // 0000000045A0: 242C2C82
	v_lshrrev_b32_e32 v28, 5, v0                               // 0000000045A4: 20380085
	v_mul_i32_i24_e32 v19, 64, v28                             // 0000000045A8: 0C2638C0
	v_and_b32_e32 v28, 31, v0                                  // 0000000045AC: 2638009F
	v_and_b32_e32 v28, 3, v28                                  // 0000000045B0: 26383883
	v_and_b32_e32 v29, 1, v28                                  // 0000000045B4: 263A3881
	v_mul_i32_i24_e32 v29, 4, v29                              // 0000000045B8: 0C3A3A84
	v_add_u32_e32 v19, v29, v19                                // 0000000045BC: 6826271D
	v_and_b32_e32 v29, 2, v28                                  // 0000000045C0: 263A3882
	v_mul_i32_i24_e32 v29, 0x44, v29                           // 0000000045C4: 0C3A3AFF 00000044
	v_add_u32_e32 v19, v29, v19                                // 0000000045CC: 6826271D
	v_and_b32_e32 v28, 31, v0                                  // 0000000045D0: 2638009F
	v_lshrrev_b32_e32 v28, 2, v28                              // 0000000045D4: 20383882
	v_lshrrev_b32_e32 v30, 2, v28                              // 0000000045D8: 203C3882
	v_mul_i32_i24_e32 v29, 16, v30                             // 0000000045DC: 0C3A3C90
	v_add_u32_e32 v19, v29, v19                                // 0000000045E0: 6826271D
	v_and_b32_e32 v29, 2, v28                                  // 0000000045E4: 263A3882
	v_lshlrev_b32_e32 v29, 4, v29                              // 0000000045E8: 243A3A84
	v_add_u32_e32 v19, v29, v19                                // 0000000045EC: 6826271D
	v_and_b32_e32 v29, 1, v28                                  // 0000000045F0: 263A3881
	v_xor_b32_e32 v29, v30, v29                                // 0000000045F4: 2A3A3B1E
	v_mul_i32_i24_e32 v29, 8, v29                              // 0000000045F8: 0C3A3A88
	v_add_u32_e32 v19, v29, v19                                // 0000000045FC: 6826271D
	v_lshlrev_b32_e32 v19, 2, v19                              // 000000004600: 24262682
	v_lshrrev_b32_e32 v28, 5, v0                               // 000000004604: 20380085
	v_mul_i32_i24_e32 v20, 32, v28                             // 000000004608: 0C2838A0
	v_and_b32_e32 v28, 31, v0                                  // 00000000460C: 2638009F
	v_and_b32_e32 v28, 3, v28                                  // 000000004610: 26383883
	v_and_b32_e32 v29, 1, v28                                  // 000000004614: 263A3881
	v_mul_i32_i24_e32 v29, 4, v29                              // 000000004618: 0C3A3A84
	v_add_u32_e32 v20, v29, v20                                // 00000000461C: 6828291D
	v_and_b32_e32 v29, 2, v28                                  // 000000004620: 263A3882
	v_lshrrev_b32_e32 v29, 1, v29                              // 000000004624: 203A3A81
	v_add_u32_e32 v20, v29, v20                                // 000000004628: 6828291D
	v_and_b32_e32 v28, 31, v0                                  // 00000000462C: 2638009F
	v_lshrrev_b32_e32 v28, 2, v28                              // 000000004630: 20383882
	v_and_b32_e32 v30, 1, v28                                  // 000000004634: 263C3881
	v_mul_i32_i24_e32 v29, 16, v30                             // 000000004638: 0C3A3C90
	v_add_u32_e32 v20, v29, v20                                // 00000000463C: 6828291D
	v_and_b32_e32 v29, 2, v28                                  // 000000004640: 263A3882
	v_add_u32_e32 v20, v29, v20                                // 000000004644: 6828291D
	v_lshrrev_b32_e32 v29, 2, v28                              // 000000004648: 203A3882
	v_xor_b32_e32 v29, v30, v29                                // 00000000464C: 2A3A3B1E
	v_mul_i32_i24_e32 v29, 8, v29                              // 000000004650: 0C3A3A88
	v_add_u32_e32 v20, v29, v20                                // 000000004654: 6828291D
	s_and_b32 s60, 1, s47                                      // 000000004658: 863C2F81
	s_mul_i32 s60, s60, 64                                     // 00000000465C: 923CC03C
	s_lshr_b32 s61, s47, 1                                     // 000000004660: 8F3D812F
	s_mul_i32 s61, s61, 0x120                                  // 000000004664: 923DFF3D 00000120
	s_add_u32 s60, s60, s61                                    // 00000000466C: 803C3D3C
	v_add_u32_e32 v20, s60, v20                                // 000000004670: 6828283C
	v_lshlrev_b32_e32 v20, 2, v20                              // 000000004674: 24282882
	buffer_load_dword v152, v1, s[12:15], 0 idxen              // 000000004678: E0502000 80039801
	buffer_load_dword v153, v2, s[12:15], 0 idxen              // 000000004680: E0502000 80039902
	buffer_load_dword v154, v3, s[12:15], 0 idxen              // 000000004688: E0502000 80039A03
	buffer_load_dword v155, v4, s[12:15], 0 idxen              // 000000004690: E0502000 80039B04
	s_mul_i32 s60, 16, s7                                      // 000000004698: 923C0790
	s_cmp_lt_i32 0, s72                                        // 00000000469C: BF044880
	s_cselect_b32 s60, s60, 0                                  // 0000000046A0: 853C803C
	s_add_u32 s12, s60, s12                                    // 0000000046A4: 800C0C3C
	s_addc_u32 s13, 0, s13                                     // 0000000046A8: 820D0D80
	buffer_load_dword v156, v1, s[12:15], 0 idxen              // 0000000046AC: E0502000 80039C01
	buffer_load_dword v157, v2, s[12:15], 0 idxen              // 0000000046B4: E0502000 80039D02
	buffer_load_dword v158, v3, s[12:15], 0 idxen              // 0000000046BC: E0502000 80039E03
	buffer_load_dword v159, v4, s[12:15], 0 idxen              // 0000000046C4: E0502000 80039F04
	s_mul_i32 s60, 16, s7                                      // 0000000046CC: 923C0790
	s_cmp_lt_i32 0, s72                                        // 0000000046D0: BF044880
	s_cselect_b32 s60, s60, 0                                  // 0000000046D4: 853C803C
	s_add_u32 s12, s60, s12                                    // 0000000046D8: 800C0C3C
	s_addc_u32 s13, 0, s13                                     // 0000000046DC: 820D0D80
	buffer_load_dword v160, v1, s[12:15], 0 idxen              // 0000000046E0: E0502000 8003A001
	buffer_load_dword v161, v2, s[12:15], 0 idxen              // 0000000046E8: E0502000 8003A102
	buffer_load_dword v162, v3, s[12:15], 0 idxen              // 0000000046F0: E0502000 8003A203
	buffer_load_dword v163, v4, s[12:15], 0 idxen              // 0000000046F8: E0502000 8003A304
	s_mul_i32 s60, 16, s7                                      // 000000004700: 923C0790
	s_cmp_lt_i32 0, s72                                        // 000000004704: BF044880
	s_cselect_b32 s60, s60, 0                                  // 000000004708: 853C803C
	s_add_u32 s12, s60, s12                                    // 00000000470C: 800C0C3C
	s_addc_u32 s13, 0, s13                                     // 000000004710: 820D0D80
	buffer_load_dword v164, v1, s[12:15], 0 idxen              // 000000004714: E0502000 8003A401
	buffer_load_dword v165, v2, s[12:15], 0 idxen              // 00000000471C: E0502000 8003A502
	buffer_load_dword v166, v3, s[12:15], 0 idxen              // 000000004724: E0502000 8003A603
	buffer_load_dword v167, v4, s[12:15], 0 idxen              // 00000000472C: E0502000 8003A704
	s_mul_i32 s60, 16, s7                                      // 000000004734: 923C0790
	s_cmp_lt_i32 1, s72                                        // 000000004738: BF044881
	s_cselect_b32 s60, s60, 0                                  // 00000000473C: 853C803C
	s_add_u32 s12, s60, s12                                    // 000000004740: 800C0C3C
	s_addc_u32 s13, 0, s13                                     // 000000004744: 820D0D80
	buffer_load_dword v168, v1, s[12:15], 0 idxen              // 000000004748: E0502000 8003A801
	buffer_load_dword v169, v2, s[12:15], 0 idxen              // 000000004750: E0502000 8003A902
	buffer_load_dword v170, v3, s[12:15], 0 idxen              // 000000004758: E0502000 8003AA03
	buffer_load_dword v171, v4, s[12:15], 0 idxen              // 000000004760: E0502000 8003AB04
	s_mul_i32 s60, 16, s7                                      // 000000004768: 923C0790
	s_cmp_lt_i32 1, s72                                        // 00000000476C: BF044881
	s_cselect_b32 s60, s60, 0                                  // 000000004770: 853C803C
	s_add_u32 s12, s60, s12                                    // 000000004774: 800C0C3C
	s_addc_u32 s13, 0, s13                                     // 000000004778: 820D0D80
	buffer_load_dword v172, v1, s[12:15], 0 idxen              // 00000000477C: E0502000 8003AC01
	buffer_load_dword v173, v2, s[12:15], 0 idxen              // 000000004784: E0502000 8003AD02
	buffer_load_dword v174, v3, s[12:15], 0 idxen              // 00000000478C: E0502000 8003AE03
	buffer_load_dword v175, v4, s[12:15], 0 idxen              // 000000004794: E0502000 8003AF04
	s_mul_i32 s60, 16, s7                                      // 00000000479C: 923C0790
	s_cmp_lt_i32 1, s72                                        // 0000000047A0: BF044881
	s_cselect_b32 s60, s60, 0                                  // 0000000047A4: 853C803C
	s_add_u32 s12, s60, s12                                    // 0000000047A8: 800C0C3C
	s_addc_u32 s13, 0, s13                                     // 0000000047AC: 820D0D80
	buffer_load_dword v176, v1, s[12:15], 0 idxen              // 0000000047B0: E0502000 8003B001
	buffer_load_dword v177, v2, s[12:15], 0 idxen              // 0000000047B8: E0502000 8003B102
	buffer_load_dword v178, v3, s[12:15], 0 idxen              // 0000000047C0: E0502000 8003B203
	buffer_load_dword v179, v4, s[12:15], 0 idxen              // 0000000047C8: E0502000 8003B304
	s_mul_i32 s60, 16, s7                                      // 0000000047D0: 923C0790
	s_cmp_lt_i32 1, s72                                        // 0000000047D4: BF044881
	s_cselect_b32 s60, s60, 0                                  // 0000000047D8: 853C803C
	s_add_u32 s12, s60, s12                                    // 0000000047DC: 800C0C3C
	s_addc_u32 s13, 0, s13                                     // 0000000047E0: 820D0D80
	buffer_load_dword v180, v1, s[12:15], 0 idxen              // 0000000047E4: E0502000 8003B401
	buffer_load_dword v181, v2, s[12:15], 0 idxen              // 0000000047EC: E0502000 8003B502
	buffer_load_dword v182, v3, s[12:15], 0 idxen              // 0000000047F4: E0502000 8003B603
	buffer_load_dword v183, v4, s[12:15], 0 idxen              // 0000000047FC: E0502000 8003B704
	s_mul_i32 s60, 16, s7                                      // 000000004804: 923C0790
	s_cmp_lt_i32 2, s72                                        // 000000004808: BF044882
	s_cselect_b32 s60, s60, 0                                  // 00000000480C: 853C803C
	s_add_u32 s12, s60, s12                                    // 000000004810: 800C0C3C
	s_addc_u32 s13, 0, s13                                     // 000000004814: 820D0D80
	buffer_load_dword v184, v1, s[12:15], 0 idxen              // 000000004818: E0502000 8003B801
	buffer_load_dword v185, v2, s[12:15], 0 idxen              // 000000004820: E0502000 8003B902
	buffer_load_dword v186, v3, s[12:15], 0 idxen              // 000000004828: E0502000 8003BA03
	buffer_load_dword v187, v4, s[12:15], 0 idxen              // 000000004830: E0502000 8003BB04
	s_mul_i32 s60, 16, s7                                      // 000000004838: 923C0790
	s_cmp_lt_i32 2, s72                                        // 00000000483C: BF044882
	s_cselect_b32 s60, s60, 0                                  // 000000004840: 853C803C
	s_add_u32 s12, s60, s12                                    // 000000004844: 800C0C3C
	s_addc_u32 s13, 0, s13                                     // 000000004848: 820D0D80
	buffer_load_dword v188, v1, s[12:15], 0 idxen              // 00000000484C: E0502000 8003BC01
	buffer_load_dword v189, v2, s[12:15], 0 idxen              // 000000004854: E0502000 8003BD02
	buffer_load_dword v190, v3, s[12:15], 0 idxen              // 00000000485C: E0502000 8003BE03
	buffer_load_dword v191, v4, s[12:15], 0 idxen              // 000000004864: E0502000 8003BF04
	s_mul_i32 s60, 16, s7                                      // 00000000486C: 923C0790
	s_cmp_lt_i32 2, s72                                        // 000000004870: BF044882
	s_cselect_b32 s60, s60, 0                                  // 000000004874: 853C803C
	s_add_u32 s12, s60, s12                                    // 000000004878: 800C0C3C
	s_addc_u32 s13, 0, s13                                     // 00000000487C: 820D0D80
	buffer_load_dword v192, v1, s[12:15], 0 idxen              // 000000004880: E0502000 8003C001
	buffer_load_dword v193, v2, s[12:15], 0 idxen              // 000000004888: E0502000 8003C102
	buffer_load_dword v194, v3, s[12:15], 0 idxen              // 000000004890: E0502000 8003C203
	buffer_load_dword v195, v4, s[12:15], 0 idxen              // 000000004898: E0502000 8003C304
	s_mul_i32 s60, 16, s7                                      // 0000000048A0: 923C0790
	s_cmp_lt_i32 2, s72                                        // 0000000048A4: BF044882
	s_cselect_b32 s60, s60, 0                                  // 0000000048A8: 853C803C
	s_add_u32 s12, s60, s12                                    // 0000000048AC: 800C0C3C
	s_addc_u32 s13, 0, s13                                     // 0000000048B0: 820D0D80
	buffer_load_dword v196, v1, s[12:15], 0 idxen              // 0000000048B4: E0502000 8003C401
	buffer_load_dword v197, v2, s[12:15], 0 idxen              // 0000000048BC: E0502000 8003C502
	buffer_load_dword v198, v3, s[12:15], 0 idxen              // 0000000048C4: E0502000 8003C603
	buffer_load_dword v199, v4, s[12:15], 0 idxen              // 0000000048CC: E0502000 8003C704
	s_mul_i32 s60, 16, s7                                      // 0000000048D4: 923C0790
	s_cmp_lt_i32 3, s72                                        // 0000000048D8: BF044883
	s_cselect_b32 s60, s60, 0                                  // 0000000048DC: 853C803C
	s_add_u32 s12, s60, s12                                    // 0000000048E0: 800C0C3C
	s_addc_u32 s13, 0, s13                                     // 0000000048E4: 820D0D80
	s_waitcnt vmcnt(32) lgkmcnt(0)                             // 0000000048E8: BF8C8070
	s_barrier                                                  // 0000000048EC: BF8A0000
	s_cmp_lt_i32 0, s72                                        // 0000000048F0: BF044880
	s_cbranch_scc1 label_02CE                                  // 0000000048F4: BF850010
	v_mov_b32_e32 v152, 0                                      // 0000000048F8: 7F300280
	v_mov_b32_e32 v153, 0                                      // 0000000048FC: 7F320280
	v_mov_b32_e32 v154, 0                                      // 000000004900: 7F340280
	v_mov_b32_e32 v155, 0                                      // 000000004904: 7F360280
	v_mov_b32_e32 v156, 0                                      // 000000004908: 7F380280
	v_mov_b32_e32 v157, 0                                      // 00000000490C: 7F3A0280
	v_mov_b32_e32 v158, 0                                      // 000000004910: 7F3C0280
	v_mov_b32_e32 v159, 0                                      // 000000004914: 7F3E0280
	v_mov_b32_e32 v160, 0                                      // 000000004918: 7F400280
	v_mov_b32_e32 v161, 0                                      // 00000000491C: 7F420280
	v_mov_b32_e32 v162, 0                                      // 000000004920: 7F440280
	v_mov_b32_e32 v163, 0                                      // 000000004924: 7F460280
	v_mov_b32_e32 v164, 0                                      // 000000004928: 7F480280
	v_mov_b32_e32 v165, 0                                      // 00000000492C: 7F4A0280
	v_mov_b32_e32 v166, 0                                      // 000000004930: 7F4C0280
	v_mov_b32_e32 v167, 0                                      // 000000004934: 7F4E0280

0000000000004938 <label_02CE>:
	v_perm_b32 v200, v153, v152, s63                           // 000000004938: D1ED00C8 00FF3199
	v_perm_b32 v201, v153, v152, s64                           // 000000004940: D1ED00C9 01033199
	v_perm_b32 v202, v155, v154, s63                           // 000000004948: D1ED00CA 00FF359B
	v_perm_b32 v203, v155, v154, s64                           // 000000004950: D1ED00CB 0103359B
	v_perm_b32 v204, v157, v156, s63                           // 000000004958: D1ED00CC 00FF399D
	v_perm_b32 v205, v157, v156, s64                           // 000000004960: D1ED00CD 0103399D
	v_perm_b32 v206, v159, v158, s63                           // 000000004968: D1ED00CE 00FF3D9F
	v_perm_b32 v207, v159, v158, s64                           // 000000004970: D1ED00CF 01033D9F
	v_perm_b32 v208, v161, v160, s63                           // 000000004978: D1ED00D0 00FF41A1
	v_perm_b32 v209, v161, v160, s64                           // 000000004980: D1ED00D1 010341A1
	v_perm_b32 v210, v163, v162, s63                           // 000000004988: D1ED00D2 00FF45A3
	v_perm_b32 v211, v163, v162, s64                           // 000000004990: D1ED00D3 010345A3
	v_perm_b32 v212, v165, v164, s63                           // 000000004998: D1ED00D4 00FF49A5
	v_perm_b32 v213, v165, v164, s64                           // 0000000049A0: D1ED00D5 010349A5
	v_perm_b32 v214, v167, v166, s63                           // 0000000049A8: D1ED00D6 00FF4DA7
	v_perm_b32 v215, v167, v166, s64                           // 0000000049B0: D1ED00D7 01034DA7
	ds_write_b32 v15, v200 offset:17408                        // 0000000049B8: D81A4400 0000C80F
	ds_write_b32 v15, v201 offset:18464                        // 0000000049C0: D81A4820 0000C90F
	ds_write_b32 v15, v202 offset:17536                        // 0000000049C8: D81A4480 0000CA0F
	ds_write_b32 v15, v203 offset:18592                        // 0000000049D0: D81A48A0 0000CB0F
	ds_write_b32 v15, v204 offset:21760                        // 0000000049D8: D81A5500 0000CC0F
	ds_write_b32 v15, v205 offset:22816                        // 0000000049E0: D81A5920 0000CD0F
	ds_write_b32 v15, v206 offset:21888                        // 0000000049E8: D81A5580 0000CE0F
	ds_write_b32 v15, v207 offset:22944                        // 0000000049F0: D81A59A0 0000CF0F
	ds_write_b32 v15, v208 offset:26112                        // 0000000049F8: D81A6600 0000D00F
	ds_write_b32 v15, v209 offset:27168                        // 000000004A00: D81A6A20 0000D10F
	ds_write_b32 v15, v210 offset:26240                        // 000000004A08: D81A6680 0000D20F
	ds_write_b32 v15, v211 offset:27296                        // 000000004A10: D81A6AA0 0000D30F
	ds_write_b32 v15, v212 offset:30464                        // 000000004A18: D81A7700 0000D40F
	ds_write_b32 v15, v213 offset:31520                        // 000000004A20: D81A7B20 0000D50F
	ds_write_b32 v15, v214 offset:30592                        // 000000004A28: D81A7780 0000D60F
	ds_write_b32 v15, v215 offset:31648                        // 000000004A30: D81A7BA0 0000D70F
	ds_write_b32 v13, v152                                     // 000000004A38: D81A0000 0000980D
	ds_write_b32 v13, v153 offset:1056                         // 000000004A40: D81A0420 0000990D
	ds_write_b32 v13, v154 offset:128                          // 000000004A48: D81A0080 00009A0D
	ds_write_b32 v13, v155 offset:1184                         // 000000004A50: D81A04A0 00009B0D
	ds_write_b32 v13, v156 offset:4352                         // 000000004A58: D81A1100 00009C0D
	ds_write_b32 v13, v157 offset:5408                         // 000000004A60: D81A1520 00009D0D
	ds_write_b32 v13, v158 offset:4480                         // 000000004A68: D81A1180 00009E0D
	ds_write_b32 v13, v159 offset:5536                         // 000000004A70: D81A15A0 00009F0D
	ds_write_b32 v13, v160 offset:8704                         // 000000004A78: D81A2200 0000A00D
	ds_write_b32 v13, v161 offset:9760                         // 000000004A80: D81A2620 0000A10D
	ds_write_b32 v13, v162 offset:8832                         // 000000004A88: D81A2280 0000A20D
	ds_write_b32 v13, v163 offset:9888                         // 000000004A90: D81A26A0 0000A30D
	ds_write_b32 v13, v164 offset:13056                        // 000000004A98: D81A3300 0000A40D
	ds_write_b32 v13, v165 offset:14112                        // 000000004AA0: D81A3720 0000A50D
	ds_write_b32 v13, v166 offset:13184                        // 000000004AA8: D81A3380 0000A60D
	ds_write_b32 v13, v167 offset:14240                        // 000000004AB0: D81A37A0 0000A70D
	buffer_load_dword v152, v1, s[16:19], 0 idxen              // 000000004AB8: E0502000 80049801
	buffer_load_dword v153, v2, s[16:19], 0 idxen              // 000000004AC0: E0502000 80049902
	buffer_load_dword v154, v3, s[16:19], 0 idxen              // 000000004AC8: E0502000 80049A03
	buffer_load_dword v155, v4, s[16:19], 0 idxen              // 000000004AD0: E0502000 80049B04
	s_mul_i32 s60, 16, s7                                      // 000000004AD8: 923C0790
	s_cmp_lt_i32 0, s72                                        // 000000004ADC: BF044880
	s_cselect_b32 s60, s60, 0                                  // 000000004AE0: 853C803C
	s_add_u32 s16, s60, s16                                    // 000000004AE4: 8010103C
	s_addc_u32 s17, 0, s17                                     // 000000004AE8: 82111180
	buffer_load_dword v156, v1, s[16:19], 0 idxen              // 000000004AEC: E0502000 80049C01
	buffer_load_dword v157, v2, s[16:19], 0 idxen              // 000000004AF4: E0502000 80049D02
	buffer_load_dword v158, v3, s[16:19], 0 idxen              // 000000004AFC: E0502000 80049E03
	buffer_load_dword v159, v4, s[16:19], 0 idxen              // 000000004B04: E0502000 80049F04
	s_mul_i32 s60, 16, s7                                      // 000000004B0C: 923C0790
	s_cmp_lt_i32 0, s72                                        // 000000004B10: BF044880
	s_cselect_b32 s60, s60, 0                                  // 000000004B14: 853C803C
	s_add_u32 s16, s60, s16                                    // 000000004B18: 8010103C
	s_addc_u32 s17, 0, s17                                     // 000000004B1C: 82111180
	buffer_load_dword v160, v1, s[16:19], 0 idxen              // 000000004B20: E0502000 8004A001
	buffer_load_dword v161, v2, s[16:19], 0 idxen              // 000000004B28: E0502000 8004A102
	buffer_load_dword v162, v3, s[16:19], 0 idxen              // 000000004B30: E0502000 8004A203
	buffer_load_dword v163, v4, s[16:19], 0 idxen              // 000000004B38: E0502000 8004A304
	s_mul_i32 s60, 16, s7                                      // 000000004B40: 923C0790
	s_cmp_lt_i32 0, s72                                        // 000000004B44: BF044880
	s_cselect_b32 s60, s60, 0                                  // 000000004B48: 853C803C
	s_add_u32 s16, s60, s16                                    // 000000004B4C: 8010103C
	s_addc_u32 s17, 0, s17                                     // 000000004B50: 82111180
	buffer_load_dword v164, v1, s[16:19], 0 idxen              // 000000004B54: E0502000 8004A401
	buffer_load_dword v165, v2, s[16:19], 0 idxen              // 000000004B5C: E0502000 8004A502
	buffer_load_dword v166, v3, s[16:19], 0 idxen              // 000000004B64: E0502000 8004A603
	buffer_load_dword v167, v4, s[16:19], 0 idxen              // 000000004B6C: E0502000 8004A704
	s_mul_i32 s60, 16, s7                                      // 000000004B74: 923C0790
	s_cmp_lt_i32 1, s72                                        // 000000004B78: BF044881
	s_cselect_b32 s60, s60, 0                                  // 000000004B7C: 853C803C
	s_add_u32 s16, s60, s16                                    // 000000004B80: 8010103C
	s_addc_u32 s17, 0, s17                                     // 000000004B84: 82111180
	s_waitcnt lgkmcnt(0)                                       // 000000004B88: BF8CC07F
	s_barrier                                                  // 000000004B8C: BF8A0000
	ds_read_b128 a[48:51], v25 offset:17408                    // 000000004B90: DBFE4400 30000019
	ds_read_b128 a[52:55], v25 offset:17664                    // 000000004B98: DBFE4500 34000019
	ds_read_b128 a[56:59], v25 offset:26112                    // 000000004BA0: DBFE6600 38000019
	ds_read_b128 a[60:63], v25 offset:26368                    // 000000004BA8: DBFE6700 3C000019
	ds_read_b128 a[0:3], v24                                   // 000000004BB0: DBFE0000 00000018
	ds_read_b128 a[4:7], v24 offset:512                        // 000000004BB8: DBFE0200 04000018
	ds_read_b128 a[8:11], v24 offset:2176                      // 000000004BC0: DBFE0880 08000018
	ds_read_b128 a[12:15], v24 offset:2688                     // 000000004BC8: DBFE0A80 0C000018
	s_waitcnt vmcnt(32) lgkmcnt(0)                             // 000000004BD0: BF8C8070
	s_barrier                                                  // 000000004BD4: BF8A0000
	s_cmp_lt_i32 1, s72                                        // 000000004BD8: BF044881
	s_cbranch_scc1 label_0388                                  // 000000004BDC: BF850010
	v_mov_b32_e32 v168, 0                                      // 000000004BE0: 7F500280
	v_mov_b32_e32 v169, 0                                      // 000000004BE4: 7F520280
	v_mov_b32_e32 v170, 0                                      // 000000004BE8: 7F540280
	v_mov_b32_e32 v171, 0                                      // 000000004BEC: 7F560280
	v_mov_b32_e32 v172, 0                                      // 000000004BF0: 7F580280
	v_mov_b32_e32 v173, 0                                      // 000000004BF4: 7F5A0280
	v_mov_b32_e32 v174, 0                                      // 000000004BF8: 7F5C0280
	v_mov_b32_e32 v175, 0                                      // 000000004BFC: 7F5E0280
	v_mov_b32_e32 v176, 0                                      // 000000004C00: 7F600280
	v_mov_b32_e32 v177, 0                                      // 000000004C04: 7F620280
	v_mov_b32_e32 v178, 0                                      // 000000004C08: 7F640280
	v_mov_b32_e32 v179, 0                                      // 000000004C0C: 7F660280
	v_mov_b32_e32 v180, 0                                      // 000000004C10: 7F680280
	v_mov_b32_e32 v181, 0                                      // 000000004C14: 7F6A0280
	v_mov_b32_e32 v182, 0                                      // 000000004C18: 7F6C0280
	v_mov_b32_e32 v183, 0                                      // 000000004C1C: 7F6E0280

0000000000004c20 <label_0388>:
	v_perm_b32 v200, v169, v168, s63                           // 000000004C20: D1ED00C8 00FF51A9
	v_perm_b32 v201, v169, v168, s64                           // 000000004C28: D1ED00C9 010351A9
	v_perm_b32 v202, v171, v170, s63                           // 000000004C30: D1ED00CA 00FF55AB
	v_perm_b32 v203, v171, v170, s64                           // 000000004C38: D1ED00CB 010355AB
	v_perm_b32 v204, v173, v172, s63                           // 000000004C40: D1ED00CC 00FF59AD
	v_perm_b32 v205, v173, v172, s64                           // 000000004C48: D1ED00CD 010359AD
	v_perm_b32 v206, v175, v174, s63                           // 000000004C50: D1ED00CE 00FF5DAF
	v_perm_b32 v207, v175, v174, s64                           // 000000004C58: D1ED00CF 01035DAF
	v_perm_b32 v208, v177, v176, s63                           // 000000004C60: D1ED00D0 00FF61B1
	v_perm_b32 v209, v177, v176, s64                           // 000000004C68: D1ED00D1 010361B1
	v_perm_b32 v210, v179, v178, s63                           // 000000004C70: D1ED00D2 00FF65B3
	v_perm_b32 v211, v179, v178, s64                           // 000000004C78: D1ED00D3 010365B3
	v_perm_b32 v212, v181, v180, s63                           // 000000004C80: D1ED00D4 00FF69B5
	v_perm_b32 v213, v181, v180, s64                           // 000000004C88: D1ED00D5 010369B5
	v_perm_b32 v214, v183, v182, s63                           // 000000004C90: D1ED00D6 00FF6DB7
	v_perm_b32 v215, v183, v182, s64                           // 000000004C98: D1ED00D7 01036DB7
	ds_write_b32 v15, v200 offset:17408                        // 000000004CA0: D81A4400 0000C80F
	ds_write_b32 v15, v201 offset:18464                        // 000000004CA8: D81A4820 0000C90F
	ds_write_b32 v15, v202 offset:17536                        // 000000004CB0: D81A4480 0000CA0F
	ds_write_b32 v15, v203 offset:18592                        // 000000004CB8: D81A48A0 0000CB0F
	ds_write_b32 v15, v204 offset:21760                        // 000000004CC0: D81A5500 0000CC0F
	ds_write_b32 v15, v205 offset:22816                        // 000000004CC8: D81A5920 0000CD0F
	ds_write_b32 v15, v206 offset:21888                        // 000000004CD0: D81A5580 0000CE0F
	ds_write_b32 v15, v207 offset:22944                        // 000000004CD8: D81A59A0 0000CF0F
	ds_write_b32 v15, v208 offset:26112                        // 000000004CE0: D81A6600 0000D00F
	ds_write_b32 v15, v209 offset:27168                        // 000000004CE8: D81A6A20 0000D10F
	ds_write_b32 v15, v210 offset:26240                        // 000000004CF0: D81A6680 0000D20F
	ds_write_b32 v15, v211 offset:27296                        // 000000004CF8: D81A6AA0 0000D30F
	ds_write_b32 v15, v212 offset:30464                        // 000000004D00: D81A7700 0000D40F
	ds_write_b32 v15, v213 offset:31520                        // 000000004D08: D81A7B20 0000D50F
	ds_write_b32 v15, v214 offset:30592                        // 000000004D10: D81A7780 0000D60F
	ds_write_b32 v15, v215 offset:31648                        // 000000004D18: D81A7BA0 0000D70F
	ds_write_b32 v13, v168                                     // 000000004D20: D81A0000 0000A80D
	ds_write_b32 v13, v169 offset:1056                         // 000000004D28: D81A0420 0000A90D
	ds_write_b32 v13, v170 offset:128                          // 000000004D30: D81A0080 0000AA0D
	ds_write_b32 v13, v171 offset:1184                         // 000000004D38: D81A04A0 0000AB0D
	ds_write_b32 v13, v172 offset:4352                         // 000000004D40: D81A1100 0000AC0D
	ds_write_b32 v13, v173 offset:5408                         // 000000004D48: D81A1520 0000AD0D
	ds_write_b32 v13, v174 offset:4480                         // 000000004D50: D81A1180 0000AE0D
	ds_write_b32 v13, v175 offset:5536                         // 000000004D58: D81A15A0 0000AF0D
	ds_write_b32 v13, v176 offset:8704                         // 000000004D60: D81A2200 0000B00D
	ds_write_b32 v13, v177 offset:9760                         // 000000004D68: D81A2620 0000B10D
	ds_write_b32 v13, v178 offset:8832                         // 000000004D70: D81A2280 0000B20D
	ds_write_b32 v13, v179 offset:9888                         // 000000004D78: D81A26A0 0000B30D
	ds_write_b32 v13, v180 offset:13056                        // 000000004D80: D81A3300 0000B40D
	ds_write_b32 v13, v181 offset:14112                        // 000000004D88: D81A3720 0000B50D
	ds_write_b32 v13, v182 offset:13184                        // 000000004D90: D81A3380 0000B60D
	ds_write_b32 v13, v183 offset:14240                        // 000000004D98: D81A37A0 0000B70D
	buffer_load_dword v168, v1, s[16:19], 0 idxen              // 000000004DA0: E0502000 8004A801
	buffer_load_dword v169, v2, s[16:19], 0 idxen              // 000000004DA8: E0502000 8004A902
	buffer_load_dword v170, v3, s[16:19], 0 idxen              // 000000004DB0: E0502000 8004AA03
	buffer_load_dword v171, v4, s[16:19], 0 idxen              // 000000004DB8: E0502000 8004AB04
	s_mul_i32 s60, 16, s7                                      // 000000004DC0: 923C0790
	s_cmp_lt_i32 1, s72                                        // 000000004DC4: BF044881
	s_cselect_b32 s60, s60, 0                                  // 000000004DC8: 853C803C
	s_add_u32 s16, s60, s16                                    // 000000004DCC: 8010103C
	s_addc_u32 s17, 0, s17                                     // 000000004DD0: 82111180
	buffer_load_dword v172, v1, s[16:19], 0 idxen              // 000000004DD4: E0502000 8004AC01
	buffer_load_dword v173, v2, s[16:19], 0 idxen              // 000000004DDC: E0502000 8004AD02
	buffer_load_dword v174, v3, s[16:19], 0 idxen              // 000000004DE4: E0502000 8004AE03
	buffer_load_dword v175, v4, s[16:19], 0 idxen              // 000000004DEC: E0502000 8004AF04
	s_mul_i32 s60, 16, s7                                      // 000000004DF4: 923C0790
	s_cmp_lt_i32 1, s72                                        // 000000004DF8: BF044881
	s_cselect_b32 s60, s60, 0                                  // 000000004DFC: 853C803C
	s_add_u32 s16, s60, s16                                    // 000000004E00: 8010103C
	s_addc_u32 s17, 0, s17                                     // 000000004E04: 82111180
	buffer_load_dword v176, v1, s[16:19], 0 idxen              // 000000004E08: E0502000 8004B001
	buffer_load_dword v177, v2, s[16:19], 0 idxen              // 000000004E10: E0502000 8004B102
	buffer_load_dword v178, v3, s[16:19], 0 idxen              // 000000004E18: E0502000 8004B203
	buffer_load_dword v179, v4, s[16:19], 0 idxen              // 000000004E20: E0502000 8004B304
	s_mul_i32 s60, 16, s7                                      // 000000004E28: 923C0790
	s_cmp_lt_i32 1, s72                                        // 000000004E2C: BF044881
	s_cselect_b32 s60, s60, 0                                  // 000000004E30: 853C803C
	s_add_u32 s16, s60, s16                                    // 000000004E34: 8010103C
	s_addc_u32 s17, 0, s17                                     // 000000004E38: 82111180
	buffer_load_dword v180, v1, s[16:19], 0 idxen              // 000000004E3C: E0502000 8004B401
	buffer_load_dword v181, v2, s[16:19], 0 idxen              // 000000004E44: E0502000 8004B502
	buffer_load_dword v182, v3, s[16:19], 0 idxen              // 000000004E4C: E0502000 8004B603
	buffer_load_dword v183, v4, s[16:19], 0 idxen              // 000000004E54: E0502000 8004B704
	s_mul_i32 s60, 16, s7                                      // 000000004E5C: 923C0790
	s_cmp_lt_i32 2, s72                                        // 000000004E60: BF044882
	s_cselect_b32 s60, s60, 0                                  // 000000004E64: 853C803C
	s_add_u32 s16, s60, s16                                    // 000000004E68: 8010103C
	s_addc_u32 s17, 0, s17                                     // 000000004E6C: 82111180
	s_waitcnt lgkmcnt(0)                                       // 000000004E70: BF8CC07F
	s_barrier                                                  // 000000004E74: BF8A0000
	ds_read_b128 a[64:67], v25 offset:17408                    // 000000004E78: DBFE4400 40000019
	ds_read_b128 a[68:71], v25 offset:17664                    // 000000004E80: DBFE4500 44000019
	ds_read_b128 a[72:75], v25 offset:26112                    // 000000004E88: DBFE6600 48000019
	ds_read_b128 a[76:79], v25 offset:26368                    // 000000004E90: DBFE6700 4C000019
	ds_read_b128 a[16:19], v24                                 // 000000004E98: DBFE0000 10000018
	ds_read_b128 a[20:23], v24 offset:512                      // 000000004EA0: DBFE0200 14000018
	ds_read_b128 a[24:27], v24 offset:2176                     // 000000004EA8: DBFE0880 18000018
	ds_read_b128 a[28:31], v24 offset:2688                     // 000000004EB0: DBFE0A80 1C000018
	s_waitcnt vmcnt(32) lgkmcnt(0)                             // 000000004EB8: BF8C8070
	s_barrier                                                  // 000000004EBC: BF8A0000
	s_cmp_lt_i32 2, s72                                        // 000000004EC0: BF044882
	s_cbranch_scc1 label_0442                                  // 000000004EC4: BF850010
	v_mov_b32_e32 v184, 0                                      // 000000004EC8: 7F700280
	v_mov_b32_e32 v185, 0                                      // 000000004ECC: 7F720280
	v_mov_b32_e32 v186, 0                                      // 000000004ED0: 7F740280
	v_mov_b32_e32 v187, 0                                      // 000000004ED4: 7F760280
	v_mov_b32_e32 v188, 0                                      // 000000004ED8: 7F780280
	v_mov_b32_e32 v189, 0                                      // 000000004EDC: 7F7A0280
	v_mov_b32_e32 v190, 0                                      // 000000004EE0: 7F7C0280
	v_mov_b32_e32 v191, 0                                      // 000000004EE4: 7F7E0280
	v_mov_b32_e32 v192, 0                                      // 000000004EE8: 7F800280
	v_mov_b32_e32 v193, 0                                      // 000000004EEC: 7F820280
	v_mov_b32_e32 v194, 0                                      // 000000004EF0: 7F840280
	v_mov_b32_e32 v195, 0                                      // 000000004EF4: 7F860280
	v_mov_b32_e32 v196, 0                                      // 000000004EF8: 7F880280
	v_mov_b32_e32 v197, 0                                      // 000000004EFC: 7F8A0280
	v_mov_b32_e32 v198, 0                                      // 000000004F00: 7F8C0280
	v_mov_b32_e32 v199, 0                                      // 000000004F04: 7F8E0280

0000000000004f08 <label_0442>:
	v_perm_b32 v200, v185, v184, s63                           // 000000004F08: D1ED00C8 00FF71B9
	v_perm_b32 v201, v185, v184, s64                           // 000000004F10: D1ED00C9 010371B9
	v_perm_b32 v202, v187, v186, s63                           // 000000004F18: D1ED00CA 00FF75BB
	v_perm_b32 v203, v187, v186, s64                           // 000000004F20: D1ED00CB 010375BB
	v_perm_b32 v204, v189, v188, s63                           // 000000004F28: D1ED00CC 00FF79BD
	v_perm_b32 v205, v189, v188, s64                           // 000000004F30: D1ED00CD 010379BD
	v_perm_b32 v206, v191, v190, s63                           // 000000004F38: D1ED00CE 00FF7DBF
	v_perm_b32 v207, v191, v190, s64                           // 000000004F40: D1ED00CF 01037DBF
	v_perm_b32 v208, v193, v192, s63                           // 000000004F48: D1ED00D0 00FF81C1
	v_perm_b32 v209, v193, v192, s64                           // 000000004F50: D1ED00D1 010381C1
	v_perm_b32 v210, v195, v194, s63                           // 000000004F58: D1ED00D2 00FF85C3
	v_perm_b32 v211, v195, v194, s64                           // 000000004F60: D1ED00D3 010385C3
	v_perm_b32 v212, v197, v196, s63                           // 000000004F68: D1ED00D4 00FF89C5
	v_perm_b32 v213, v197, v196, s64                           // 000000004F70: D1ED00D5 010389C5
	v_perm_b32 v214, v199, v198, s63                           // 000000004F78: D1ED00D6 00FF8DC7
	v_perm_b32 v215, v199, v198, s64                           // 000000004F80: D1ED00D7 01038DC7
	ds_write_b32 v15, v200 offset:17408                        // 000000004F88: D81A4400 0000C80F
	ds_write_b32 v15, v201 offset:18464                        // 000000004F90: D81A4820 0000C90F
	ds_write_b32 v15, v202 offset:17536                        // 000000004F98: D81A4480 0000CA0F
	ds_write_b32 v15, v203 offset:18592                        // 000000004FA0: D81A48A0 0000CB0F
	ds_write_b32 v15, v204 offset:21760                        // 000000004FA8: D81A5500 0000CC0F
	ds_write_b32 v15, v205 offset:22816                        // 000000004FB0: D81A5920 0000CD0F
	ds_write_b32 v15, v206 offset:21888                        // 000000004FB8: D81A5580 0000CE0F
	ds_write_b32 v15, v207 offset:22944                        // 000000004FC0: D81A59A0 0000CF0F
	ds_write_b32 v15, v208 offset:26112                        // 000000004FC8: D81A6600 0000D00F
	ds_write_b32 v15, v209 offset:27168                        // 000000004FD0: D81A6A20 0000D10F
	ds_write_b32 v15, v210 offset:26240                        // 000000004FD8: D81A6680 0000D20F
	ds_write_b32 v15, v211 offset:27296                        // 000000004FE0: D81A6AA0 0000D30F
	ds_write_b32 v15, v212 offset:30464                        // 000000004FE8: D81A7700 0000D40F
	ds_write_b32 v15, v213 offset:31520                        // 000000004FF0: D81A7B20 0000D50F
	ds_write_b32 v15, v214 offset:30592                        // 000000004FF8: D81A7780 0000D60F
	ds_write_b32 v15, v215 offset:31648                        // 000000005000: D81A7BA0 0000D70F
	ds_write_b32 v13, v184                                     // 000000005008: D81A0000 0000B80D
	ds_write_b32 v13, v185 offset:1056                         // 000000005010: D81A0420 0000B90D
	ds_write_b32 v13, v186 offset:128                          // 000000005018: D81A0080 0000BA0D
	ds_write_b32 v13, v187 offset:1184                         // 000000005020: D81A04A0 0000BB0D
	ds_write_b32 v13, v188 offset:4352                         // 000000005028: D81A1100 0000BC0D
	ds_write_b32 v13, v189 offset:5408                         // 000000005030: D81A1520 0000BD0D
	ds_write_b32 v13, v190 offset:4480                         // 000000005038: D81A1180 0000BE0D
	ds_write_b32 v13, v191 offset:5536                         // 000000005040: D81A15A0 0000BF0D
	ds_write_b32 v13, v192 offset:8704                         // 000000005048: D81A2200 0000C00D
	ds_write_b32 v13, v193 offset:9760                         // 000000005050: D81A2620 0000C10D
	ds_write_b32 v13, v194 offset:8832                         // 000000005058: D81A2280 0000C20D
	ds_write_b32 v13, v195 offset:9888                         // 000000005060: D81A26A0 0000C30D
	ds_write_b32 v13, v196 offset:13056                        // 000000005068: D81A3300 0000C40D
	ds_write_b32 v13, v197 offset:14112                        // 000000005070: D81A3720 0000C50D
	ds_write_b32 v13, v198 offset:13184                        // 000000005078: D81A3380 0000C60D
	ds_write_b32 v13, v199 offset:14240                        // 000000005080: D81A37A0 0000C70D
	buffer_load_dword v184, v1, s[16:19], 0 idxen              // 000000005088: E0502000 8004B801
	buffer_load_dword v185, v2, s[16:19], 0 idxen              // 000000005090: E0502000 8004B902
	buffer_load_dword v186, v3, s[16:19], 0 idxen              // 000000005098: E0502000 8004BA03
	buffer_load_dword v187, v4, s[16:19], 0 idxen              // 0000000050A0: E0502000 8004BB04
	s_mul_i32 s60, 16, s7                                      // 0000000050A8: 923C0790
	s_cmp_lt_i32 2, s72                                        // 0000000050AC: BF044882
	s_cselect_b32 s60, s60, 0                                  // 0000000050B0: 853C803C
	s_add_u32 s16, s60, s16                                    // 0000000050B4: 8010103C
	s_addc_u32 s17, 0, s17                                     // 0000000050B8: 82111180
	buffer_load_dword v188, v1, s[16:19], 0 idxen              // 0000000050BC: E0502000 8004BC01
	buffer_load_dword v189, v2, s[16:19], 0 idxen              // 0000000050C4: E0502000 8004BD02
	buffer_load_dword v190, v3, s[16:19], 0 idxen              // 0000000050CC: E0502000 8004BE03
	buffer_load_dword v191, v4, s[16:19], 0 idxen              // 0000000050D4: E0502000 8004BF04
	s_mul_i32 s60, 16, s7                                      // 0000000050DC: 923C0790
	s_cmp_lt_i32 2, s72                                        // 0000000050E0: BF044882
	s_cselect_b32 s60, s60, 0                                  // 0000000050E4: 853C803C
	s_add_u32 s16, s60, s16                                    // 0000000050E8: 8010103C
	s_addc_u32 s17, 0, s17                                     // 0000000050EC: 82111180
	buffer_load_dword v192, v1, s[16:19], 0 idxen              // 0000000050F0: E0502000 8004C001
	buffer_load_dword v193, v2, s[16:19], 0 idxen              // 0000000050F8: E0502000 8004C102
	buffer_load_dword v194, v3, s[16:19], 0 idxen              // 000000005100: E0502000 8004C203
	buffer_load_dword v195, v4, s[16:19], 0 idxen              // 000000005108: E0502000 8004C304
	s_mul_i32 s60, 16, s7                                      // 000000005110: 923C0790
	s_cmp_lt_i32 2, s72                                        // 000000005114: BF044882
	s_cselect_b32 s60, s60, 0                                  // 000000005118: 853C803C
	s_add_u32 s16, s60, s16                                    // 00000000511C: 8010103C
	s_addc_u32 s17, 0, s17                                     // 000000005120: 82111180
	buffer_load_dword v196, v1, s[16:19], 0 idxen              // 000000005124: E0502000 8004C401
	buffer_load_dword v197, v2, s[16:19], 0 idxen              // 00000000512C: E0502000 8004C502
	buffer_load_dword v198, v3, s[16:19], 0 idxen              // 000000005134: E0502000 8004C603
	buffer_load_dword v199, v4, s[16:19], 0 idxen              // 00000000513C: E0502000 8004C704
	s_mul_i32 s60, 16, s7                                      // 000000005144: 923C0790
	s_cmp_lt_i32 3, s72                                        // 000000005148: BF044883
	s_cselect_b32 s60, s60, 0                                  // 00000000514C: 853C803C
	s_add_u32 s16, s60, s16                                    // 000000005150: 8010103C
	s_addc_u32 s17, 0, s17                                     // 000000005154: 82111180
	s_waitcnt lgkmcnt(0)                                       // 000000005158: BF8CC07F
	s_barrier                                                  // 00000000515C: BF8A0000
	ds_read_b128 a[80:83], v25 offset:17408                    // 000000005160: DBFE4400 50000019
	ds_read_b128 a[84:87], v25 offset:17664                    // 000000005168: DBFE4500 54000019
	ds_read_b128 a[88:91], v25 offset:26112                    // 000000005170: DBFE6600 58000019
	ds_read_b128 a[92:95], v25 offset:26368                    // 000000005178: DBFE6700 5C000019
	ds_read_b128 a[32:35], v24                                 // 000000005180: DBFE0000 20000018
	ds_read_b128 a[36:39], v24 offset:512                      // 000000005188: DBFE0200 24000018
	ds_read_b128 a[40:43], v24 offset:2176                     // 000000005190: DBFE0880 28000018
	ds_read_b128 a[44:47], v24 offset:2688                     // 000000005198: DBFE0A80 2C000018
	s_waitcnt vmcnt(32) lgkmcnt(0)                             // 0000000051A0: BF8C8070
	s_barrier                                                  // 0000000051A4: BF8A0000
	s_cmp_lt_i32 0, s72                                        // 0000000051A8: BF044880
	s_cbranch_scc1 label_04FC                                  // 0000000051AC: BF850010
	v_mov_b32_e32 v152, 0                                      // 0000000051B0: 7F300280
	v_mov_b32_e32 v153, 0                                      // 0000000051B4: 7F320280
	v_mov_b32_e32 v154, 0                                      // 0000000051B8: 7F340280
	v_mov_b32_e32 v155, 0                                      // 0000000051BC: 7F360280
	v_mov_b32_e32 v156, 0                                      // 0000000051C0: 7F380280
	v_mov_b32_e32 v157, 0                                      // 0000000051C4: 7F3A0280
	v_mov_b32_e32 v158, 0                                      // 0000000051C8: 7F3C0280
	v_mov_b32_e32 v159, 0                                      // 0000000051CC: 7F3E0280
	v_mov_b32_e32 v160, 0                                      // 0000000051D0: 7F400280
	v_mov_b32_e32 v161, 0                                      // 0000000051D4: 7F420280
	v_mov_b32_e32 v162, 0                                      // 0000000051D8: 7F440280
	v_mov_b32_e32 v163, 0                                      // 0000000051DC: 7F460280
	v_mov_b32_e32 v164, 0                                      // 0000000051E0: 7F480280
	v_mov_b32_e32 v165, 0                                      // 0000000051E4: 7F4A0280
	v_mov_b32_e32 v166, 0                                      // 0000000051E8: 7F4C0280
	v_mov_b32_e32 v167, 0                                      // 0000000051EC: 7F4E0280

00000000000051f0 <label_04FC>:
	ds_write_b32 v13, v152                                     // 0000000051F0: D81A0000 0000980D
	ds_write_b32 v13, v153 offset:1056                         // 0000000051F8: D81A0420 0000990D
	ds_write_b32 v13, v154 offset:128                          // 000000005200: D81A0080 00009A0D
	ds_write_b32 v13, v155 offset:1184                         // 000000005208: D81A04A0 00009B0D
	ds_write_b32 v13, v156 offset:4352                         // 000000005210: D81A1100 00009C0D
	ds_write_b32 v13, v157 offset:5408                         // 000000005218: D81A1520 00009D0D
	ds_write_b32 v13, v158 offset:4480                         // 000000005220: D81A1180 00009E0D
	ds_write_b32 v13, v159 offset:5536                         // 000000005228: D81A15A0 00009F0D
	ds_write_b32 v13, v160 offset:8704                         // 000000005230: D81A2200 0000A00D
	ds_write_b32 v13, v161 offset:9760                         // 000000005238: D81A2620 0000A10D
	ds_write_b32 v13, v162 offset:8832                         // 000000005240: D81A2280 0000A20D
	ds_write_b32 v13, v163 offset:9888                         // 000000005248: D81A26A0 0000A30D
	ds_write_b32 v13, v164 offset:13056                        // 000000005250: D81A3300 0000A40D
	ds_write_b32 v13, v165 offset:14112                        // 000000005258: D81A3720 0000A50D
	ds_write_b32 v13, v166 offset:13184                        // 000000005260: D81A3380 0000A60D
	ds_write_b32 v13, v167 offset:14240                        // 000000005268: D81A37A0 0000A70D
	s_mov_b32 s71, s70                                         // 000000005270: BEC70046
	v_lshrrev_b32_e32 v28, 4, v0                               // 000000005274: 20380084
	v_and_b32_e32 v29, 1, v28                                  // 000000005278: 263A3881
	v_lshlrev_b32_e32 v29, 1, v29                              // 00000000527C: 243A3A81
	v_mul_i32_i24_e32 v29, s71, v29                            // 000000005280: 0C3A3A47
	v_and_b32_e32 v30, 2, v28                                  // 000000005284: 263C3882
	v_lshlrev_b32_e32 v30, 5, v30                              // 000000005288: 243C3C85
	v_add_u32_e32 v29, v30, v29                                // 00000000528C: 683A3B1E
	v_and_b32_e32 v28, 15, v0                                  // 000000005290: 2638008F
	v_lshlrev_b32_e32 v28, 2, v28                              // 000000005294: 24383882
	v_add_u32_e32 v1, v28, v29                                 // 000000005298: 68023B1C
	s_and_b32 s60, 1, s47                                      // 00000000529C: 863C2F81
	s_mul_i32 s60, s60, s71                                    // 0000000052A0: 923C473C
	s_mul_i32 s60, s60, 8                                      // 0000000052A4: 923C883C
	s_lshr_b32 s61, s47, 1                                     // 0000000052A8: 8F3D812F
	s_mul_i32 s61, s61, 0x80                                   // 0000000052AC: 923DFF3D 00000080
	s_add_u32 s60, s60, s61                                    // 0000000052B4: 803C3D3C
	v_add_u32_e32 v1, s60, v1                                  // 0000000052B8: 6802023C
	v_add_u32_e32 v2, s71, v1                                  // 0000000052BC: 68040247
	s_mul_i32 s60, 4, s71                                      // 0000000052C0: 923C4784
	v_add_u32_e32 v3, s60, v1                                  // 0000000052C4: 6806023C
	v_add_u32_e32 v4, s60, v2                                  // 0000000052C8: 6808043C
	v_lshrrev_b32_e32 v1, 2, v1                                // 0000000052CC: 20020282
	v_lshrrev_b32_e32 v2, 2, v2                                // 0000000052D0: 20040482
	v_lshrrev_b32_e32 v3, 2, v3                                // 0000000052D4: 20060682
	v_lshrrev_b32_e32 v4, 2, v4                                // 0000000052D8: 20080882
	buffer_load_dword v32, v1, s[8:11], 0 idxen                // 0000000052DC: E0502000 80022001
	buffer_load_dword v33, v2, s[8:11], 0 idxen                // 0000000052E4: E0502000 80022102
	buffer_load_dword v34, v3, s[8:11], 0 idxen                // 0000000052EC: E0502000 80022203
	buffer_load_dword v35, v4, s[8:11], 0 idxen                // 0000000052F4: E0502000 80022304
	buffer_load_dword v40, v1, s[20:23], 0 idxen               // 0000000052FC: E0502000 80052801
	buffer_load_dword v41, v2, s[20:23], 0 idxen               // 000000005304: E0502000 80052902
	buffer_load_dword v42, v3, s[20:23], 0 idxen               // 00000000530C: E0502000 80052A03
	buffer_load_dword v43, v4, s[20:23], 0 idxen               // 000000005314: E0502000 80052B04
	s_waitcnt lgkmcnt(0)                                       // 00000000531C: BF8CC07F
	s_barrier                                                  // 000000005320: BF8A0000
	ds_read_b128 a[96:99], v24                                 // 000000005324: DBFE0000 60000018
	ds_read_b128 a[100:103], v24 offset:512                    // 00000000532C: DBFE0200 64000018
	ds_read_b128 a[104:107], v24 offset:2176                   // 000000005334: DBFE0880 68000018
	ds_read_b128 a[108:111], v24 offset:2688                   // 00000000533C: DBFE0A80 6C000018
	s_add_u32 s8, s68, s8                                      // 000000005344: 80080844
	s_addc_u32 s9, 0, s9                                       // 000000005348: 82090980
	s_add_u32 s20, s68, s20                                    // 00000000534C: 80141444
	s_addc_u32 s21, 0, s21                                     // 000000005350: 82151580
	s_waitcnt vmcnt(24) lgkmcnt(0)                             // 000000005354: BF8C4078
	s_barrier                                                  // 000000005358: BF8A0000
	s_cmp_lt_i32 1, s72                                        // 00000000535C: BF044881
	s_cbranch_scc1 label_0569                                  // 000000005360: BF850010
	v_mov_b32_e32 v168, 0                                      // 000000005364: 7F500280
	v_mov_b32_e32 v169, 0                                      // 000000005368: 7F520280
	v_mov_b32_e32 v170, 0                                      // 00000000536C: 7F540280
	v_mov_b32_e32 v171, 0                                      // 000000005370: 7F560280
	v_mov_b32_e32 v172, 0                                      // 000000005374: 7F580280
	v_mov_b32_e32 v173, 0                                      // 000000005378: 7F5A0280
	v_mov_b32_e32 v174, 0                                      // 00000000537C: 7F5C0280
	v_mov_b32_e32 v175, 0                                      // 000000005380: 7F5E0280
	v_mov_b32_e32 v176, 0                                      // 000000005384: 7F600280
	v_mov_b32_e32 v177, 0                                      // 000000005388: 7F620280
	v_mov_b32_e32 v178, 0                                      // 00000000538C: 7F640280
	v_mov_b32_e32 v179, 0                                      // 000000005390: 7F660280
	v_mov_b32_e32 v180, 0                                      // 000000005394: 7F680280
	v_mov_b32_e32 v181, 0                                      // 000000005398: 7F6A0280
	v_mov_b32_e32 v182, 0                                      // 00000000539C: 7F6C0280
	v_mov_b32_e32 v183, 0                                      // 0000000053A0: 7F6E0280

00000000000053a4 <label_0569>:
	ds_write_b32 v13, v168                                     // 0000000053A4: D81A0000 0000A80D
	ds_write_b32 v13, v169 offset:1056                         // 0000000053AC: D81A0420 0000A90D
	ds_write_b32 v13, v170 offset:128                          // 0000000053B4: D81A0080 0000AA0D
	ds_write_b32 v13, v171 offset:1184                         // 0000000053BC: D81A04A0 0000AB0D
	ds_write_b32 v13, v172 offset:4352                         // 0000000053C4: D81A1100 0000AC0D
	ds_write_b32 v13, v173 offset:5408                         // 0000000053CC: D81A1520 0000AD0D
	ds_write_b32 v13, v174 offset:4480                         // 0000000053D4: D81A1180 0000AE0D
	ds_write_b32 v13, v175 offset:5536                         // 0000000053DC: D81A15A0 0000AF0D
	ds_write_b32 v13, v176 offset:8704                         // 0000000053E4: D81A2200 0000B00D
	ds_write_b32 v13, v177 offset:9760                         // 0000000053EC: D81A2620 0000B10D
	ds_write_b32 v13, v178 offset:8832                         // 0000000053F4: D81A2280 0000B20D
	ds_write_b32 v13, v179 offset:9888                         // 0000000053FC: D81A26A0 0000B30D
	ds_write_b32 v13, v180 offset:13056                        // 000000005404: D81A3300 0000B40D
	ds_write_b32 v13, v181 offset:14112                        // 00000000540C: D81A3720 0000B50D
	ds_write_b32 v13, v182 offset:13184                        // 000000005414: D81A3380 0000B60D
	ds_write_b32 v13, v183 offset:14240                        // 00000000541C: D81A37A0 0000B70D
	buffer_load_dword v36, v1, s[8:11], 0 idxen                // 000000005424: E0502000 80022401
	buffer_load_dword v37, v2, s[8:11], 0 idxen                // 00000000542C: E0502000 80022502
	buffer_load_dword v38, v3, s[8:11], 0 idxen                // 000000005434: E0502000 80022603
	buffer_load_dword v39, v4, s[8:11], 0 idxen                // 00000000543C: E0502000 80022704
	buffer_load_dword v44, v1, s[20:23], 0 idxen               // 000000005444: E0502000 80052C01
	buffer_load_dword v45, v2, s[20:23], 0 idxen               // 00000000544C: E0502000 80052D02
	buffer_load_dword v46, v3, s[20:23], 0 idxen               // 000000005454: E0502000 80052E03
	buffer_load_dword v47, v4, s[20:23], 0 idxen               // 00000000545C: E0502000 80052F04
	s_waitcnt lgkmcnt(0)                                       // 000000005464: BF8CC07F
	s_barrier                                                  // 000000005468: BF8A0000
	ds_read_b128 a[112:115], v24                               // 00000000546C: DBFE0000 70000018
	ds_read_b128 a[116:119], v24 offset:512                    // 000000005474: DBFE0200 74000018
	ds_read_b128 a[120:123], v24 offset:2176                   // 00000000547C: DBFE0880 78000018
	ds_read_b128 a[124:127], v24 offset:2688                   // 000000005484: DBFE0A80 7C000018
	s_add_u32 s8, s68, s8                                      // 00000000548C: 80080844
	s_addc_u32 s9, 0, s9                                       // 000000005490: 82090980
	s_add_u32 s20, s68, s20                                    // 000000005494: 80141444
	s_addc_u32 s21, 0, s21                                     // 000000005498: 82151580
	s_waitcnt vmcnt(16) lgkmcnt(0)                             // 00000000549C: BF8C4070
	s_barrier                                                  // 0000000054A0: BF8A0000
	s_cmp_lt_i32 2, s72                                        // 0000000054A4: BF044882
	s_cbranch_scc1 label_05BB                                  // 0000000054A8: BF850010
	v_mov_b32_e32 v184, 0                                      // 0000000054AC: 7F700280
	v_mov_b32_e32 v185, 0                                      // 0000000054B0: 7F720280
	v_mov_b32_e32 v186, 0                                      // 0000000054B4: 7F740280
	v_mov_b32_e32 v187, 0                                      // 0000000054B8: 7F760280
	v_mov_b32_e32 v188, 0                                      // 0000000054BC: 7F780280
	v_mov_b32_e32 v189, 0                                      // 0000000054C0: 7F7A0280
	v_mov_b32_e32 v190, 0                                      // 0000000054C4: 7F7C0280
	v_mov_b32_e32 v191, 0                                      // 0000000054C8: 7F7E0280
	v_mov_b32_e32 v192, 0                                      // 0000000054CC: 7F800280
	v_mov_b32_e32 v193, 0                                      // 0000000054D0: 7F820280
	v_mov_b32_e32 v194, 0                                      // 0000000054D4: 7F840280
	v_mov_b32_e32 v195, 0                                      // 0000000054D8: 7F860280
	v_mov_b32_e32 v196, 0                                      // 0000000054DC: 7F880280
	v_mov_b32_e32 v197, 0                                      // 0000000054E0: 7F8A0280
	v_mov_b32_e32 v198, 0                                      // 0000000054E4: 7F8C0280
	v_mov_b32_e32 v199, 0                                      // 0000000054E8: 7F8E0280

00000000000054ec <label_05BB>:
	ds_write_b32 v13, v184                                     // 0000000054EC: D81A0000 0000B80D
	ds_write_b32 v13, v185 offset:1056                         // 0000000054F4: D81A0420 0000B90D
	ds_write_b32 v13, v186 offset:128                          // 0000000054FC: D81A0080 0000BA0D
	ds_write_b32 v13, v187 offset:1184                         // 000000005504: D81A04A0 0000BB0D
	ds_write_b32 v13, v188 offset:4352                         // 00000000550C: D81A1100 0000BC0D
	ds_write_b32 v13, v189 offset:5408                         // 000000005514: D81A1520 0000BD0D
	ds_write_b32 v13, v190 offset:4480                         // 00000000551C: D81A1180 0000BE0D
	ds_write_b32 v13, v191 offset:5536                         // 000000005524: D81A15A0 0000BF0D
	ds_write_b32 v13, v192 offset:8704                         // 00000000552C: D81A2200 0000C00D
	ds_write_b32 v13, v193 offset:9760                         // 000000005534: D81A2620 0000C10D
	ds_write_b32 v13, v194 offset:8832                         // 00000000553C: D81A2280 0000C20D
	ds_write_b32 v13, v195 offset:9888                         // 000000005544: D81A26A0 0000C30D
	ds_write_b32 v13, v196 offset:13056                        // 00000000554C: D81A3300 0000C40D
	ds_write_b32 v13, v197 offset:14112                        // 000000005554: D81A3720 0000C50D
	ds_write_b32 v13, v198 offset:13184                        // 00000000555C: D81A3380 0000C60D
	ds_write_b32 v13, v199 offset:14240                        // 000000005564: D81A37A0 0000C70D
	s_waitcnt lgkmcnt(0)                                       // 00000000556C: BF8CC07F
	s_barrier                                                  // 000000005570: BF8A0000
	ds_read_b128 a[128:131], v24                               // 000000005574: DBFE0000 80000018
	ds_read_b128 a[132:135], v24 offset:512                    // 00000000557C: DBFE0200 84000018
	ds_read_b128 a[136:139], v24 offset:2176                   // 000000005584: DBFE0880 88000018
	ds_read_b128 a[140:143], v24 offset:2688                   // 00000000558C: DBFE0A80 8C000018
	s_waitcnt vmcnt(8) lgkmcnt(0)                              // 000000005594: BF8C0078
	s_barrier                                                  // 000000005598: BF8A0000
	buffer_load_dword v11, s[24:27], 0 idxen lds               // 00000000559C: E0512000 8006000B
	s_mov_b32 m0, s81                                          // 0000000055A4: BEFC0051
	v_add_u32_e32 v11, s69, v11                                // 0000000055A8: 68161645
	v_perm_b32 v84, v33, v32, s63                              // 0000000055AC: D1ED0054 00FE4121
	v_perm_b32 v85, v33, v32, s64                              // 0000000055B4: D1ED0055 01024121
	v_perm_b32 v86, v35, v34, s63                              // 0000000055BC: D1ED0056 00FE4523
	v_perm_b32 v87, v35, v34, s64                              // 0000000055C4: D1ED0057 01024523
	ds_write_b32 v15, v84 offset:4352                          // 0000000055CC: D81A1100 0000540F
	ds_write_b32 v15, v85 offset:5408                          // 0000000055D4: D81A1520 0000550F
	ds_write_b32 v15, v86 offset:4480                          // 0000000055DC: D81A1180 0000560F
	ds_write_b32 v15, v87 offset:5536                          // 0000000055E4: D81A15A0 0000570F
	ds_write_b32 v13, v32                                      // 0000000055EC: D81A0000 0000200D
	ds_write_b32 v13, v33 offset:1056                          // 0000000055F4: D81A0420 0000210D
	ds_write_b32 v13, v34 offset:128                           // 0000000055FC: D81A0080 0000220D
	ds_write_b32 v13, v35 offset:1184                          // 000000005604: D81A04A0 0000230D
	buffer_load_dword v11, s[24:27], 0 idxen lds               // 00000000560C: E0512000 8006000B
	s_mov_b32 m0, s80                                          // 000000005614: BEFC0050
	v_add_u32_e32 v11, s69, v11                                // 000000005618: 68161645
	v_perm_b32 v88, v41, v40, s63                              // 00000000561C: D1ED0058 00FE5129
	v_perm_b32 v89, v41, v40, s64                              // 000000005624: D1ED0059 01025129
	v_perm_b32 v90, v43, v42, s63                              // 00000000562C: D1ED005A 00FE552B
	v_perm_b32 v91, v43, v42, s64                              // 000000005634: D1ED005B 0102552B
	ds_write_b32 v15, v88 offset:13056                         // 00000000563C: D81A3300 0000580F
	ds_write_b32 v15, v89 offset:14112                         // 000000005644: D81A3720 0000590F
	ds_write_b32 v15, v90 offset:13184                         // 00000000564C: D81A3380 00005A0F
	ds_write_b32 v15, v91 offset:14240                         // 000000005654: D81A37A0 00005B0F
	ds_write_b32 v13, v40 offset:8704                          // 00000000565C: D81A2200 0000280D
	ds_write_b32 v13, v41 offset:9760                          // 000000005664: D81A2620 0000290D
	ds_write_b32 v13, v42 offset:8832                          // 00000000566C: D81A2280 00002A0D
	ds_write_b32 v13, v43 offset:9888                          // 000000005674: D81A26A0 00002B0D
	s_waitcnt vmcnt(1) lgkmcnt(0)                              // 00000000567C: BF8C0071
	s_barrier                                                  // 000000005680: BF8A0000
	ds_read_b128 a[144:147], v12                               // 000000005684: DBFE0000 9000000C
	ds_read_b128 a[148:151], v12 offset:512                    // 00000000568C: DBFE0200 9400000C
	ds_read_b128 a[152:155], v12 offset:2176                   // 000000005694: DBFE0880 9800000C
	ds_read_b128 a[156:159], v12 offset:2688                   // 00000000569C: DBFE0A80 9C00000C
	ds_read_b128 v[92:95], v12 offset:8704                     // 0000000056A4: D9FE2200 5C00000C
	ds_read_b128 v[96:99], v12 offset:9216                     // 0000000056AC: D9FE2400 6000000C
	ds_read_b128 v[100:103], v12 offset:10880                  // 0000000056B4: D9FE2A80 6400000C
	ds_read_b128 v[104:107], v12 offset:11392                  // 0000000056BC: D9FE2C80 6800000C
	ds_read_b32 v124, v23 offset:50688                         // 0000000056C4: D86CC600 7C000017
	ds_read_b32 v150, v23 offset:50944                         // 0000000056CC: D86CC700 96000017
	v_accvgpr_write_b32 a160, 0                                // 0000000056D4: D3D940A0 18000080
	v_mov_b32_e32 v152, 0                                      // 0000000056DC: 7F300280
	v_accvgpr_write_b32 a161, 0                                // 0000000056E0: D3D940A1 18000080
	v_mov_b32_e32 v153, 0                                      // 0000000056E8: 7F320280
	v_accvgpr_write_b32 a162, 0                                // 0000000056EC: D3D940A2 18000080
	v_mov_b32_e32 v154, 0                                      // 0000000056F4: 7F340280
	v_accvgpr_write_b32 a163, 0                                // 0000000056F8: D3D940A3 18000080
	v_mov_b32_e32 v155, 0                                      // 000000005700: 7F360280
	v_accvgpr_write_b32 a164, 0                                // 000000005704: D3D940A4 18000080
	v_mov_b32_e32 v156, 0                                      // 00000000570C: 7F380280
	v_accvgpr_write_b32 a165, 0                                // 000000005710: D3D940A5 18000080
	v_mov_b32_e32 v157, 0                                      // 000000005718: 7F3A0280
	v_accvgpr_write_b32 a166, 0                                // 00000000571C: D3D940A6 18000080
	v_mov_b32_e32 v158, 0                                      // 000000005724: 7F3C0280
	v_accvgpr_write_b32 a167, 0                                // 000000005728: D3D940A7 18000080
	v_mov_b32_e32 v159, 0                                      // 000000005730: 7F3E0280
	v_accvgpr_write_b32 a168, 0                                // 000000005734: D3D940A8 18000080
	v_mov_b32_e32 v160, 0                                      // 00000000573C: 7F400280
	v_accvgpr_write_b32 a169, 0                                // 000000005740: D3D940A9 18000080
	v_mov_b32_e32 v161, 0                                      // 000000005748: 7F420280
	v_accvgpr_write_b32 a170, 0                                // 00000000574C: D3D940AA 18000080
	v_mov_b32_e32 v162, 0                                      // 000000005754: 7F440280
	v_accvgpr_write_b32 a171, 0                                // 000000005758: D3D940AB 18000080
	v_mov_b32_e32 v163, 0                                      // 000000005760: 7F460280
	v_accvgpr_write_b32 a172, 0                                // 000000005764: D3D940AC 18000080
	v_mov_b32_e32 v164, 0                                      // 00000000576C: 7F480280
	v_accvgpr_write_b32 a173, 0                                // 000000005770: D3D940AD 18000080
	v_mov_b32_e32 v165, 0                                      // 000000005778: 7F4A0280
	v_accvgpr_write_b32 a174, 0                                // 00000000577C: D3D940AE 18000080
	v_mov_b32_e32 v166, 0                                      // 000000005784: 7F4C0280
	v_accvgpr_write_b32 a175, 0                                // 000000005788: D3D940AF 18000080
	v_mov_b32_e32 v167, 0                                      // 000000005790: 7F4E0280
	v_accvgpr_write_b32 a176, 0                                // 000000005794: D3D940B0 18000080
	v_mov_b32_e32 v168, 0                                      // 00000000579C: 7F500280
	v_accvgpr_write_b32 a177, 0                                // 0000000057A0: D3D940B1 18000080
	v_mov_b32_e32 v169, 0                                      // 0000000057A8: 7F520280
	v_accvgpr_write_b32 a178, 0                                // 0000000057AC: D3D940B2 18000080
	v_mov_b32_e32 v170, 0                                      // 0000000057B4: 7F540280
	v_accvgpr_write_b32 a179, 0                                // 0000000057B8: D3D940B3 18000080
	v_mov_b32_e32 v171, 0                                      // 0000000057C0: 7F560280
	v_accvgpr_write_b32 a180, 0                                // 0000000057C4: D3D940B4 18000080
	v_mov_b32_e32 v172, 0                                      // 0000000057CC: 7F580280
	v_accvgpr_write_b32 a181, 0                                // 0000000057D0: D3D940B5 18000080
	v_mov_b32_e32 v173, 0                                      // 0000000057D8: 7F5A0280
	v_accvgpr_write_b32 a182, 0                                // 0000000057DC: D3D940B6 18000080
	v_mov_b32_e32 v174, 0                                      // 0000000057E4: 7F5C0280
	v_accvgpr_write_b32 a183, 0                                // 0000000057E8: D3D940B7 18000080
	v_mov_b32_e32 v175, 0                                      // 0000000057F0: 7F5E0280
	v_accvgpr_write_b32 a184, 0                                // 0000000057F4: D3D940B8 18000080
	v_mov_b32_e32 v176, 0                                      // 0000000057FC: 7F600280
	v_accvgpr_write_b32 a185, 0                                // 000000005800: D3D940B9 18000080
	v_mov_b32_e32 v177, 0                                      // 000000005808: 7F620280
	v_accvgpr_write_b32 a186, 0                                // 00000000580C: D3D940BA 18000080
	v_mov_b32_e32 v178, 0                                      // 000000005814: 7F640280
	v_accvgpr_write_b32 a187, 0                                // 000000005818: D3D940BB 18000080
	v_mov_b32_e32 v179, 0                                      // 000000005820: 7F660280
	v_accvgpr_write_b32 a188, 0                                // 000000005824: D3D940BC 18000080
	v_mov_b32_e32 v180, 0                                      // 00000000582C: 7F680280
	v_accvgpr_write_b32 a189, 0                                // 000000005830: D3D940BD 18000080
	v_mov_b32_e32 v181, 0                                      // 000000005838: 7F6A0280
	v_accvgpr_write_b32 a190, 0                                // 00000000583C: D3D940BE 18000080
	v_mov_b32_e32 v182, 0                                      // 000000005844: 7F6C0280
	v_accvgpr_write_b32 a191, 0                                // 000000005848: D3D940BF 18000080
	v_mov_b32_e32 v183, 0                                      // 000000005850: 7F6E0280
	v_accvgpr_write_b32 a192, 0                                // 000000005854: D3D940C0 18000080
	v_mov_b32_e32 v184, 0                                      // 00000000585C: 7F700280
	v_accvgpr_write_b32 a193, 0                                // 000000005860: D3D940C1 18000080
	v_mov_b32_e32 v185, 0                                      // 000000005868: 7F720280
	v_accvgpr_write_b32 a194, 0                                // 00000000586C: D3D940C2 18000080
	v_mov_b32_e32 v186, 0                                      // 000000005874: 7F740280
	v_accvgpr_write_b32 a195, 0                                // 000000005878: D3D940C3 18000080
	v_mov_b32_e32 v187, 0                                      // 000000005880: 7F760280
	v_accvgpr_write_b32 a196, 0                                // 000000005884: D3D940C4 18000080
	v_mov_b32_e32 v188, 0                                      // 00000000588C: 7F780280
	v_accvgpr_write_b32 a197, 0                                // 000000005890: D3D940C5 18000080
	v_mov_b32_e32 v189, 0                                      // 000000005898: 7F7A0280
	v_accvgpr_write_b32 a198, 0                                // 00000000589C: D3D940C6 18000080
	v_mov_b32_e32 v190, 0                                      // 0000000058A4: 7F7C0280
	v_accvgpr_write_b32 a199, 0                                // 0000000058A8: D3D940C7 18000080
	v_mov_b32_e32 v191, 0                                      // 0000000058B0: 7F7E0280
	v_accvgpr_write_b32 a200, 0                                // 0000000058B4: D3D940C8 18000080
	v_mov_b32_e32 v192, 0                                      // 0000000058BC: 7F800280
	v_accvgpr_write_b32 a201, 0                                // 0000000058C0: D3D940C9 18000080
	v_mov_b32_e32 v193, 0                                      // 0000000058C8: 7F820280
	v_accvgpr_write_b32 a202, 0                                // 0000000058CC: D3D940CA 18000080
	v_mov_b32_e32 v194, 0                                      // 0000000058D4: 7F840280
	v_accvgpr_write_b32 a203, 0                                // 0000000058D8: D3D940CB 18000080
	v_mov_b32_e32 v195, 0                                      // 0000000058E0: 7F860280
	v_accvgpr_write_b32 a204, 0                                // 0000000058E4: D3D940CC 18000080
	v_mov_b32_e32 v196, 0                                      // 0000000058EC: 7F880280
	v_accvgpr_write_b32 a205, 0                                // 0000000058F0: D3D940CD 18000080
	v_mov_b32_e32 v197, 0                                      // 0000000058F8: 7F8A0280
	v_accvgpr_write_b32 a206, 0                                // 0000000058FC: D3D940CE 18000080
	v_mov_b32_e32 v198, 0                                      // 000000005904: 7F8C0280
	v_accvgpr_write_b32 a207, 0                                // 000000005908: D3D940CF 18000080
	v_mov_b32_e32 v199, 0                                      // 000000005910: 7F8E0280
	v_accvgpr_write_b32 a208, 0                                // 000000005914: D3D940D0 18000080
	v_mov_b32_e32 v200, 0                                      // 00000000591C: 7F900280
	v_accvgpr_write_b32 a209, 0                                // 000000005920: D3D940D1 18000080
	v_mov_b32_e32 v201, 0                                      // 000000005928: 7F920280
	v_accvgpr_write_b32 a210, 0                                // 00000000592C: D3D940D2 18000080
	v_mov_b32_e32 v202, 0                                      // 000000005934: 7F940280
	v_accvgpr_write_b32 a211, 0                                // 000000005938: D3D940D3 18000080
	v_mov_b32_e32 v203, 0                                      // 000000005940: 7F960280
	v_accvgpr_write_b32 a212, 0                                // 000000005944: D3D940D4 18000080
	v_mov_b32_e32 v204, 0                                      // 00000000594C: 7F980280
	v_accvgpr_write_b32 a213, 0                                // 000000005950: D3D940D5 18000080
	v_mov_b32_e32 v205, 0                                      // 000000005958: 7F9A0280
	v_accvgpr_write_b32 a214, 0                                // 00000000595C: D3D940D6 18000080
	v_mov_b32_e32 v206, 0                                      // 000000005964: 7F9C0280
	v_accvgpr_write_b32 a215, 0                                // 000000005968: D3D940D7 18000080
	v_mov_b32_e32 v207, 0                                      // 000000005970: 7F9E0280
	v_accvgpr_write_b32 a216, 0                                // 000000005974: D3D940D8 18000080
	v_mov_b32_e32 v208, 0                                      // 00000000597C: 7FA00280
	v_accvgpr_write_b32 a217, 0                                // 000000005980: D3D940D9 18000080
	v_mov_b32_e32 v209, 0                                      // 000000005988: 7FA20280
	v_accvgpr_write_b32 a218, 0                                // 00000000598C: D3D940DA 18000080
	v_mov_b32_e32 v210, 0                                      // 000000005994: 7FA40280
	v_accvgpr_write_b32 a219, 0                                // 000000005998: D3D940DB 18000080
	v_mov_b32_e32 v211, 0                                      // 0000000059A0: 7FA60280
	v_accvgpr_write_b32 a220, 0                                // 0000000059A4: D3D940DC 18000080
	v_mov_b32_e32 v212, 0                                      // 0000000059AC: 7FA80280
	v_accvgpr_write_b32 a221, 0                                // 0000000059B0: D3D940DD 18000080
	v_mov_b32_e32 v213, 0                                      // 0000000059B8: 7FAA0280
	v_accvgpr_write_b32 a222, 0                                // 0000000059BC: D3D940DE 18000080
	v_mov_b32_e32 v214, 0                                      // 0000000059C4: 7FAC0280
	v_accvgpr_write_b32 a223, 0                                // 0000000059C8: D3D940DF 18000080
	v_mov_b32_e32 v215, 0                                      // 0000000059D0: 7FAE0280
	v_accvgpr_write_b32 a224, 0                                // 0000000059D4: D3D940E0 18000080
	v_mov_b32_e32 v216, 0                                      // 0000000059DC: 7FB00280
	v_accvgpr_write_b32 a225, 0                                // 0000000059E0: D3D940E1 18000080
	v_mov_b32_e32 v217, 0                                      // 0000000059E8: 7FB20280
	v_accvgpr_write_b32 a226, 0                                // 0000000059EC: D3D940E2 18000080
	v_mov_b32_e32 v218, 0                                      // 0000000059F4: 7FB40280
	v_accvgpr_write_b32 a227, 0                                // 0000000059F8: D3D940E3 18000080
	v_mov_b32_e32 v219, 0                                      // 000000005A00: 7FB60280
	v_accvgpr_write_b32 a228, 0                                // 000000005A04: D3D940E4 18000080
	v_mov_b32_e32 v220, 0                                      // 000000005A0C: 7FB80280
	v_accvgpr_write_b32 a229, 0                                // 000000005A10: D3D940E5 18000080
	v_mov_b32_e32 v221, 0                                      // 000000005A18: 7FBA0280
	v_accvgpr_write_b32 a230, 0                                // 000000005A1C: D3D940E6 18000080
	v_mov_b32_e32 v222, 0                                      // 000000005A24: 7FBC0280
	v_accvgpr_write_b32 a231, 0                                // 000000005A28: D3D940E7 18000080
	v_mov_b32_e32 v223, 0                                      // 000000005A30: 7FBE0280
	v_accvgpr_write_b32 a232, 0                                // 000000005A34: D3D940E8 18000080
	v_mov_b32_e32 v224, 0                                      // 000000005A3C: 7FC00280
	v_accvgpr_write_b32 a233, 0                                // 000000005A40: D3D940E9 18000080
	v_mov_b32_e32 v225, 0                                      // 000000005A48: 7FC20280
	v_accvgpr_write_b32 a234, 0                                // 000000005A4C: D3D940EA 18000080
	v_mov_b32_e32 v226, 0                                      // 000000005A54: 7FC40280
	v_accvgpr_write_b32 a235, 0                                // 000000005A58: D3D940EB 18000080
	v_mov_b32_e32 v227, 0                                      // 000000005A60: 7FC60280
	v_accvgpr_write_b32 a236, 0                                // 000000005A64: D3D940EC 18000080
	v_mov_b32_e32 v228, 0                                      // 000000005A6C: 7FC80280
	v_accvgpr_write_b32 a237, 0                                // 000000005A70: D3D940ED 18000080
	v_mov_b32_e32 v229, 0                                      // 000000005A78: 7FCA0280
	v_accvgpr_write_b32 a238, 0                                // 000000005A7C: D3D940EE 18000080
	v_mov_b32_e32 v230, 0                                      // 000000005A84: 7FCC0280
	v_accvgpr_write_b32 a239, 0                                // 000000005A88: D3D940EF 18000080
	v_mov_b32_e32 v231, 0                                      // 000000005A90: 7FCE0280
	v_accvgpr_write_b32 a240, 0                                // 000000005A94: D3D940F0 18000080
	v_mov_b32_e32 v232, 0                                      // 000000005A9C: 7FD00280
	v_accvgpr_write_b32 a241, 0                                // 000000005AA0: D3D940F1 18000080
	v_mov_b32_e32 v233, 0                                      // 000000005AA8: 7FD20280
	v_accvgpr_write_b32 a242, 0                                // 000000005AAC: D3D940F2 18000080
	v_mov_b32_e32 v234, 0                                      // 000000005AB4: 7FD40280
	v_accvgpr_write_b32 a243, 0                                // 000000005AB8: D3D940F3 18000080
	v_mov_b32_e32 v235, 0                                      // 000000005AC0: 7FD60280
	v_accvgpr_write_b32 a244, 0                                // 000000005AC4: D3D940F4 18000080
	v_mov_b32_e32 v236, 0                                      // 000000005ACC: 7FD80280
	v_accvgpr_write_b32 a245, 0                                // 000000005AD0: D3D940F5 18000080
	v_mov_b32_e32 v237, 0                                      // 000000005AD8: 7FDA0280
	v_accvgpr_write_b32 a246, 0                                // 000000005ADC: D3D940F6 18000080
	v_mov_b32_e32 v238, 0                                      // 000000005AE4: 7FDC0280
	v_accvgpr_write_b32 a247, 0                                // 000000005AE8: D3D940F7 18000080
	v_mov_b32_e32 v239, 0                                      // 000000005AF0: 7FDE0280
	v_accvgpr_write_b32 a248, 0                                // 000000005AF4: D3D940F8 18000080
	v_mov_b32_e32 v240, 0                                      // 000000005AFC: 7FE00280
	v_accvgpr_write_b32 a249, 0                                // 000000005B00: D3D940F9 18000080
	v_mov_b32_e32 v241, 0                                      // 000000005B08: 7FE20280
	v_accvgpr_write_b32 a250, 0                                // 000000005B0C: D3D940FA 18000080
	v_mov_b32_e32 v242, 0                                      // 000000005B14: 7FE40280
	v_accvgpr_write_b32 a251, 0                                // 000000005B18: D3D940FB 18000080
	v_mov_b32_e32 v243, 0                                      // 000000005B20: 7FE60280
	v_accvgpr_write_b32 a252, 0                                // 000000005B24: D3D940FC 18000080
	v_mov_b32_e32 v244, 0                                      // 000000005B2C: 7FE80280
	v_accvgpr_write_b32 a253, 0                                // 000000005B30: D3D940FD 18000080
	v_mov_b32_e32 v245, 0                                      // 000000005B38: 7FEA0280
	v_accvgpr_write_b32 a254, 0                                // 000000005B3C: D3D940FE 18000080
	v_mov_b32_e32 v246, 0                                      // 000000005B44: 7FEC0280
	v_accvgpr_write_b32 a255, 0                                // 000000005B48: D3D940FF 18000080
	v_mov_b32_e32 v247, 0                                      // 000000005B50: 7FEE0280
	v_mov_b32_e32 v136, 0                                      // 000000005B54: 7F100280
	v_mov_b32_e32 v137, 0                                      // 000000005B58: 7F120280
	v_mov_b32_e32 v138, 0                                      // 000000005B5C: 7F140280
	v_mov_b32_e32 v139, 0                                      // 000000005B60: 7F160280
	v_mov_b32_e32 v140, 0                                      // 000000005B64: 7F180280
	v_mov_b32_e32 v141, 0                                      // 000000005B68: 7F1A0280
	v_mov_b32_e32 v142, 0                                      // 000000005B6C: 7F1C0280
	v_mov_b32_e32 v143, 0                                      // 000000005B70: 7F1E0280
	v_mov_b32_e32 v128, 0                                      // 000000005B74: 7F000280
	v_mov_b32_e32 v129, 0                                      // 000000005B78: 7F020280
	v_mov_b32_e32 v130, 0                                      // 000000005B7C: 7F040280
	v_mov_b32_e32 v131, 0                                      // 000000005B80: 7F060280
	v_mov_b32_e32 v132, 0                                      // 000000005B84: 7F080280
	v_mov_b32_e32 v133, 0                                      // 000000005B88: 7F0A0280
	v_mov_b32_e32 v134, 0                                      // 000000005B8C: 7F0C0280
	v_mov_b32_e32 v135, 0                                      // 000000005B90: 7F0E0280
	s_waitcnt lgkmcnt(0)                                       // 000000005B94: BF8CC07F
	s_barrier                                                  // 000000005B98: BF8A0000
	buffer_load_dword v32, v1, s[8:11], 0 idxen                // 000000005B9C: E0502000 80022001
	buffer_load_dword v33, v2, s[8:11], 0 idxen                // 000000005BA4: E0502000 80022102
	buffer_load_dword v34, v3, s[8:11], 0 idxen                // 000000005BAC: E0502000 80022203
	buffer_load_dword v35, v4, s[8:11], 0 idxen                // 000000005BB4: E0502000 80022304
	buffer_load_dword v40, v1, s[20:23], 0 idxen               // 000000005BBC: E0502000 80052801
	buffer_load_dword v41, v2, s[20:23], 0 idxen               // 000000005BC4: E0502000 80052902
	buffer_load_dword v42, v3, s[20:23], 0 idxen               // 000000005BCC: E0502000 80052A03
	buffer_load_dword v43, v4, s[20:23], 0 idxen               // 000000005BD4: E0502000 80052B04
	buffer_load_dword v11, s[24:27], 0 idxen lds               // 000000005BDC: E0512000 8006000B
	s_mov_b32 m0, s81                                          // 000000005BE4: BEFC0051
	v_add_u32_e32 v11, s69, v11                                // 000000005BE8: 68161645
	s_add_u32 s8, s68, s8                                      // 000000005BEC: 80080844
	s_addc_u32 s9, 0, s9                                       // 000000005BF0: 82090980
	s_add_u32 s20, s68, s20                                    // 000000005BF4: 80141444
	s_addc_u32 s21, 0, s21                                     // 000000005BF8: 82151580
	v_mul_f32_e32 v124, s49, v124                              // 000000005BFC: 0AF8F831
	v_perm_b32 v84, v37, v36, s63                              // 000000005C00: D1ED0054 00FE4925
	v_perm_b32 v85, v37, v36, s64                              // 000000005C08: D1ED0055 01024925
	v_perm_b32 v86, v39, v38, s63                              // 000000005C10: D1ED0056 00FE4D27
	v_perm_b32 v87, v39, v38, s64                              // 000000005C18: D1ED0057 01024D27
	v_perm_b32 v88, v45, v44, s63                              // 000000005C20: D1ED0058 00FE592D
	v_perm_b32 v89, v45, v44, s64                              // 000000005C28: D1ED0059 0102592D
	v_perm_b32 v90, v47, v46, s63                              // 000000005C30: D1ED005A 00FE5D2F
	v_perm_b32 v91, v47, v46, s64                              // 000000005C38: D1ED005B 01025D2F
	v_mov_b32_dpp v127, v124 quad_perm:[3,3,3,3] row_mask:0xf bank_mask:0xf// 000000005C40: 7EFE02FA FF00FF7C
	v_mov_b32_dpp v126, v124 quad_perm:[2,2,2,2] row_mask:0xf bank_mask:0xf// 000000005C48: 7EFC02FA FF00AA7C
	v_mov_b32_dpp v125, v124 quad_perm:[1,1,1,1] row_mask:0xf bank_mask:0xf// 000000005C50: 7EFA02FA FF00557C
	v_mov_b32_dpp v124, v124 quad_perm:[0,0,0,0] row_mask:0xf bank_mask:0xf// 000000005C58: 7EF802FA FF00007C
	s_waitcnt vmcnt(9)                                         // 000000005C60: BF8C0F79
	s_barrier                                                  // 000000005C64: BF8A0000
	s_cmp_lt_i32 s47, 2                                        // 000000005C68: BF04822F
	s_cbranch_scc0 label_0CFB                                  // 000000005C6C: BF84055F
	s_nop 0                                                    // 000000005C70: BF800000
	s_nop 0                                                    // 000000005C74: BF800000
	s_nop 0                                                    // 000000005C78: BF800000

0000000000005c7c <label_079F>:
	s_waitcnt lgkmcnt(4)                                       // 000000005C7C: BF8CC47F
	s_barrier                                                  // 000000005C80: BF8A0000
	v_mfma_f32_16x16x16_bf16 v[48:51], a[144:145], a[0:1], 0   // 000000005C84: D3E10030 1A020190
	ds_write_b32 v13, v44 offset:8704                          // 000000005C8C: D81A2200 00002C0D
	ds_write_b32 v13, v45 offset:9760                          // 000000005C94: D81A2620 00002D0D
	v_mfma_f32_16x16x16_bf16 v[48:51], a[146:147], a[2:3], v[48:51]// 000000005C9C: D3E10030 1CC20592
	v_mul_f32_e32 v128, s48, v128                              // 000000005CA4: 0B010030
	v_mul_f32_e32 v129, s48, v129                              // 000000005CA8: 0B030230
	v_mfma_f32_16x16x16_bf16 v[48:51], a[148:149], a[4:5], v[48:51]// 000000005CAC: D3E10030 1CC20994
	ds_write_b32 v13, v46 offset:8832                          // 000000005CB4: D81A2280 00002E0D
	ds_write_b32 v13, v47 offset:9888                          // 000000005CBC: D81A26A0 00002F0D
	v_mfma_f32_16x16x16_bf16 v[48:51], a[150:151], a[6:7], v[48:51]// 000000005CC4: D3E10030 1CC20D96
	v_mul_f32_e32 v130, s48, v130                              // 000000005CCC: 0B050430
	v_mul_f32_e32 v131, s48, v131                              // 000000005CD0: 0B070630
	v_mfma_f32_16x16x16_bf16 v[48:51], a[152:153], a[8:9], v[48:51]// 000000005CD4: D3E10030 1CC21198
	v_mul_f32_e32 v132, s48, v132                              // 000000005CDC: 0B090830
	v_mul_f32_e32 v133, s48, v133                              // 000000005CE0: 0B0B0A30
	v_mfma_f32_16x16x16_bf16 v[48:51], a[154:155], a[10:11], v[48:51]// 000000005CE4: D3E10030 1CC2159A
	v_mul_f32_e32 v134, s48, v134                              // 000000005CEC: 0B0D0C30
	v_mul_f32_e32 v135, s48, v135                              // 000000005CF0: 0B0F0E30
	v_mfma_f32_16x16x16_bf16 v[48:51], a[156:157], a[12:13], v[48:51]// 000000005CF4: D3E10030 1CC2199C
	v_perm_b32 v128, v129, v128, s64                           // 000000005CFC: D1ED0080 01030181
	v_perm_b32 v129, v131, v130, s64                           // 000000005D04: D1ED0081 01030583
	v_mfma_f32_16x16x16_bf16 v[48:51], a[158:159], a[14:15], v[48:51]// 000000005D0C: D3E10030 1CC21D9E
	v_perm_b32 v130, v133, v132, s64                           // 000000005D14: D1ED0082 01030985
	v_perm_b32 v131, v135, v134, s64                           // 000000005D1C: D1ED0083 01030D87
	v_mfma_f32_16x16x16_bf16 v[52:55], a[144:145], a[16:17], 0 // 000000005D24: D3E10034 1A022190
	ds_write_b64 v22, v[128:129] offset:24320                  // 000000005D2C: D89A5F00 00008016
	v_mfma_f32_16x16x16_bf16 v[52:55], a[146:147], a[18:19], v[52:55]// 000000005D34: D3E10034 1CD22592
	v_mfma_f32_16x16x16_bf16 v[52:55], a[148:149], a[20:21], v[52:55]// 000000005D3C: D3E10034 1CD22994
	ds_write_b64 v22, v[130:131] offset:24864                  // 000000005D44: D89A6120 00008216
	v_mfma_f32_16x16x16_bf16 v[52:55], a[150:151], a[22:23], v[52:55]// 000000005D4C: D3E10034 1CD22D96
	v_mfma_f32_16x16x16_bf16 v[52:55], a[152:153], a[24:25], v[52:55]// 000000005D54: D3E10034 1CD23198
	ds_read_b128 v[108:111], v14 offset:13056                  // 000000005D5C: D9FE3300 6C00000E
	ds_write_b32 v13, v36                                      // 000000005D64: D81A0000 0000240D
	v_mfma_f32_16x16x16_bf16 v[52:55], a[154:155], a[26:27], v[52:55]// 000000005D6C: D3E10034 1CD2359A
	v_mfma_f32_16x16x16_bf16 v[52:55], a[156:157], a[28:29], v[52:55]// 000000005D74: D3E10034 1CD2399C
	v_mfma_f32_16x16x16_bf16 v[52:55], a[158:159], a[30:31], v[52:55]// 000000005D7C: D3E10034 1CD23D9E
	ds_read_b128 v[112:115], v14 offset:13568                  // 000000005D84: D9FE3500 7000000E
	ds_write_b32 v13, v37 offset:1056                          // 000000005D8C: D81A0420 0000250D
	v_mfma_f32_16x16x16_bf16 v[56:59], a[144:145], a[32:33], 0 // 000000005D94: D3E10038 1A024190
	v_mfma_f32_16x16x16_bf16 v[56:59], a[146:147], a[34:35], v[56:59]// 000000005D9C: D3E10038 1CE24592
	v_mfma_f32_16x16x16_bf16 v[56:59], a[148:149], a[36:37], v[56:59]// 000000005DA4: D3E10038 1CE24994
	ds_read_b128 v[116:119], v14 offset:15232                  // 000000005DAC: D9FE3B80 7400000E
	ds_write_b32 v13, v38 offset:128                           // 000000005DB4: D81A0080 0000260D
	v_mfma_f32_16x16x16_bf16 v[56:59], a[150:151], a[38:39], v[56:59]// 000000005DBC: D3E10038 1CE24D96
	v_mfma_f32_16x16x16_bf16 v[56:59], a[152:153], a[40:41], v[56:59]// 000000005DC4: D3E10038 1CE25198
	v_mfma_f32_16x16x16_bf16 v[56:59], a[154:155], a[42:43], v[56:59]// 000000005DCC: D3E10038 1CE2559A
	ds_read_b128 v[120:123], v14 offset:15744                  // 000000005DD4: D9FE3D80 7800000E
	ds_write_b32 v13, v39 offset:1184                          // 000000005DDC: D81A04A0 0000270D
	v_mfma_f32_16x16x16_bf16 v[56:59], a[156:157], a[44:45], v[56:59]// 000000005DE4: D3E10038 1CE2599C
	v_mfma_f32_16x16x16_bf16 v[56:59], a[158:159], a[46:47], v[56:59]// 000000005DEC: D3E10038 1CE25D9E
	s_cmp_lt_i32 s74, 12                                       // 000000005DF4: BF048C4A
	s_cbranch_scc0 label_0874                                  // 000000005DF8: BF840075
	s_mov_b32 s60, 0xffe0fffe                                  // 000000005DFC: BEBC00FF FFE0FFFE
	s_mov_b32 s61, 0xe000fe00                                  // 000000005E04: BEBD00FF E000FE00
	s_nop 0                                                    // 000000005E0C: BF800000
	s_add_u32 s62, 0, s47                                      // 000000005E10: 803E2F80
	s_cmp_lt_i32 s74, s62                                      // 000000005E14: BF043E4A
	s_cbranch_scc1 label_082F                                  // 000000005E18: BF850028
	s_cmp_eq_i32 s74, s62                                      // 000000005E1C: BF003E4A
	s_cbranch_scc1 label_0814                                  // 000000005E20: BF85000B
	s_add_u32 s62, 4, s47                                      // 000000005E24: 803E2F84
	s_cmp_lt_i32 s74, s62                                      // 000000005E28: BF043E4A
	s_cbranch_scc1 label_084F                                  // 000000005E2C: BF850043
	s_cmp_eq_i32 s74, s62                                      // 000000005E30: BF003E4A
	s_cbranch_scc1 label_0834                                  // 000000005E34: BF850026
	s_add_u32 s62, 8, s47                                      // 000000005E38: 803E2F88
	s_cmp_lt_i32 s74, s62                                      // 000000005E3C: BF043E4A
	s_cbranch_scc1 label_086F                                  // 000000005E40: BF85005E
	s_cmp_eq_i32 s74, s62                                      // 000000005E44: BF003E4A
	s_cbranch_scc1 label_0854                                  // 000000005E48: BF850041
	s_branch label_0874                                        // 000000005E4C: BF820060

0000000000005e50 <label_0814>:
	v_cndmask_b32_e64 v48, v48, v151, s[60:61]                 // 000000005E50: D1000030 00F32F30
	s_lshl_b32 s60, s60, 1                                     // 000000005E58: 8E3C813C
	s_lshl_b32 s61, s61, 1                                     // 000000005E5C: 8E3D813D
	s_and_b32 s60, 0xfffeffff, s60                             // 000000005E60: 863C3CFF FFFEFFFF
	s_and_b32 s61, 0xfffeffff, s61                             // 000000005E68: 863D3DFF FFFEFFFF
	v_cndmask_b32_e64 v49, v49, v151, s[60:61]                 // 000000005E70: D1000031 00F32F31
	s_lshl_b32 s60, s60, 1                                     // 000000005E78: 8E3C813C
	s_lshl_b32 s61, s61, 1                                     // 000000005E7C: 8E3D813D
	s_and_b32 s60, 0xfffeffff, s60                             // 000000005E80: 863C3CFF FFFEFFFF
	s_and_b32 s61, 0xfffeffff, s61                             // 000000005E88: 863D3DFF FFFEFFFF
	v_cndmask_b32_e64 v50, v50, v151, s[60:61]                 // 000000005E90: D1000032 00F32F32
	s_lshl_b32 s60, s60, 1                                     // 000000005E98: 8E3C813C
	s_lshl_b32 s61, s61, 1                                     // 000000005E9C: 8E3D813D
	s_and_b32 s60, 0xfffeffff, s60                             // 000000005EA0: 863C3CFF FFFEFFFF
	s_and_b32 s61, 0xfffeffff, s61                             // 000000005EA8: 863D3DFF FFFEFFFF
	v_cndmask_b32_e64 v51, v51, v151, s[60:61]                 // 000000005EB0: D1000033 00F32F33
	s_branch label_084F                                        // 000000005EB8: BF820020

0000000000005ebc <label_082F>:
	v_mov_b32_e32 v48, v151                                    // 000000005EBC: 7E600397
	v_mov_b32_e32 v49, v151                                    // 000000005EC0: 7E620397
	v_mov_b32_e32 v50, v151                                    // 000000005EC4: 7E640397
	v_mov_b32_e32 v51, v151                                    // 000000005EC8: 7E660397
	s_branch label_084F                                        // 000000005ECC: BF82001B

0000000000005ed0 <label_0834>:
	v_cndmask_b32_e64 v52, v52, v151, s[60:61]                 // 000000005ED0: D1000034 00F32F34
	s_lshl_b32 s60, s60, 1                                     // 000000005ED8: 8E3C813C
	s_lshl_b32 s61, s61, 1                                     // 000000005EDC: 8E3D813D
	s_and_b32 s60, 0xfffeffff, s60                             // 000000005EE0: 863C3CFF FFFEFFFF
	s_and_b32 s61, 0xfffeffff, s61                             // 000000005EE8: 863D3DFF FFFEFFFF
	v_cndmask_b32_e64 v53, v53, v151, s[60:61]                 // 000000005EF0: D1000035 00F32F35
	s_lshl_b32 s60, s60, 1                                     // 000000005EF8: 8E3C813C
	s_lshl_b32 s61, s61, 1                                     // 000000005EFC: 8E3D813D
	s_and_b32 s60, 0xfffeffff, s60                             // 000000005F00: 863C3CFF FFFEFFFF
	s_and_b32 s61, 0xfffeffff, s61                             // 000000005F08: 863D3DFF FFFEFFFF
	v_cndmask_b32_e64 v54, v54, v151, s[60:61]                 // 000000005F10: D1000036 00F32F36
	s_lshl_b32 s60, s60, 1                                     // 000000005F18: 8E3C813C
	s_lshl_b32 s61, s61, 1                                     // 000000005F1C: 8E3D813D
	s_and_b32 s60, 0xfffeffff, s60                             // 000000005F20: 863C3CFF FFFEFFFF
	s_and_b32 s61, 0xfffeffff, s61                             // 000000005F28: 863D3DFF FFFEFFFF
	v_cndmask_b32_e64 v55, v55, v151, s[60:61]                 // 000000005F30: D1000037 00F32F37
	s_branch label_086F                                        // 000000005F38: BF820020

0000000000005f3c <label_084F>:
	v_mov_b32_e32 v52, v151                                    // 000000005F3C: 7E680397
	v_mov_b32_e32 v53, v151                                    // 000000005F40: 7E6A0397
	v_mov_b32_e32 v54, v151                                    // 000000005F44: 7E6C0397
	v_mov_b32_e32 v55, v151                                    // 000000005F48: 7E6E0397
	s_branch label_086F                                        // 000000005F4C: BF82001B

0000000000005f50 <label_0854>:
	v_cndmask_b32_e64 v56, v56, v151, s[60:61]                 // 000000005F50: D1000038 00F32F38
	s_lshl_b32 s60, s60, 1                                     // 000000005F58: 8E3C813C
	s_lshl_b32 s61, s61, 1                                     // 000000005F5C: 8E3D813D
	s_and_b32 s60, 0xfffeffff, s60                             // 000000005F60: 863C3CFF FFFEFFFF
	s_and_b32 s61, 0xfffeffff, s61                             // 000000005F68: 863D3DFF FFFEFFFF
	v_cndmask_b32_e64 v57, v57, v151, s[60:61]                 // 000000005F70: D1000039 00F32F39
	s_lshl_b32 s60, s60, 1                                     // 000000005F78: 8E3C813C
	s_lshl_b32 s61, s61, 1                                     // 000000005F7C: 8E3D813D
	s_and_b32 s60, 0xfffeffff, s60                             // 000000005F80: 863C3CFF FFFEFFFF
	s_and_b32 s61, 0xfffeffff, s61                             // 000000005F88: 863D3DFF FFFEFFFF
	v_cndmask_b32_e64 v58, v58, v151, s[60:61]                 // 000000005F90: D100003A 00F32F3A
	s_lshl_b32 s60, s60, 1                                     // 000000005F98: 8E3C813C
	s_lshl_b32 s61, s61, 1                                     // 000000005F9C: 8E3D813D
	s_and_b32 s60, 0xfffeffff, s60                             // 000000005FA0: 863C3CFF FFFEFFFF
	s_and_b32 s61, 0xfffeffff, s61                             // 000000005FA8: 863D3DFF FFFEFFFF
	v_cndmask_b32_e64 v59, v59, v151, s[60:61]                 // 000000005FB0: D100003B 00F32F3B
	s_branch label_0874                                        // 000000005FB8: BF820005

0000000000005fbc <label_086F>:
	v_mov_b32_e32 v56, v151                                    // 000000005FBC: 7E700397
	v_mov_b32_e32 v57, v151                                    // 000000005FC0: 7E720397
	v_mov_b32_e32 v58, v151                                    // 000000005FC4: 7E740397
	v_mov_b32_e32 v59, v151                                    // 000000005FC8: 7E760397
	s_branch label_0874                                        // 000000005FCC: BF820000

0000000000005fd0 <label_0874>:
	s_addk_i32 s74, 0x1                                        // 000000005FD0: B74A0001
	s_waitcnt lgkmcnt(8)                                       // 000000005FD4: BF8CC87F
	s_barrier                                                  // 000000005FD8: BF8A0000
	v_mfma_f32_16x16x16_bf16 v[72:75], v[92:93], a[96:97], 0   // 000000005FDC: D3E10048 1202C15C
	ds_read_b128 a[144:147], v14 offset:4352                   // 000000005FE4: DBFE1100 9000000E
	ds_read_b128 a[148:151], v14 offset:4864                   // 000000005FEC: DBFE1300 9400000E
	v_mfma_f32_16x16x16_bf16 v[72:75], v[94:95], a[98:99], v[72:75]// 000000005FF4: D3E10048 1522C55E
	v_fma_f32 v48, v48, s57, -v124                             // 000000005FFC: D1CB0030 85F07330
	v_fma_f32 v49, v49, s57, -v125                             // 000000006004: D1CB0031 85F47331
	v_fma_f32 v50, v50, s57, -v126                             // 00000000600C: D1CB0032 85F87332
	v_mfma_f32_16x16x16_bf16 v[72:75], v[96:97], a[100:101], v[72:75]// 000000006014: D3E10048 1522C960
	v_fma_f32 v51, v51, s57, -v127                             // 00000000601C: D1CB0033 85FC7333
	v_fma_f32 v52, v52, s57, -v124                             // 000000006024: D1CB0034 85F07334
	v_fma_f32 v53, v53, s57, -v125                             // 00000000602C: D1CB0035 85F47335
	v_mfma_f32_16x16x16_bf16 v[72:75], v[98:99], a[102:103], v[72:75]// 000000006034: D3E10048 1522CD62
	v_fma_f32 v54, v54, s57, -v126                             // 00000000603C: D1CB0036 85F87336
	v_fma_f32 v55, v55, s57, -v127                             // 000000006044: D1CB0037 85FC7337
	v_fma_f32 v56, v56, s57, -v124                             // 00000000604C: D1CB0038 85F07338
	v_mfma_f32_16x16x16_bf16 v[72:75], v[100:101], a[104:105], v[72:75]// 000000006054: D3E10048 1522D164
	ds_read_b128 a[152:155], v14 offset:6528                   // 00000000605C: DBFE1980 9800000E
	ds_read_b128 a[156:159], v14 offset:7040                   // 000000006064: DBFE1B80 9C00000E
	v_mfma_f32_16x16x16_bf16 v[72:75], v[102:103], a[106:107], v[72:75]// 00000000606C: D3E10048 1522D566
	v_fma_f32 v57, v57, s57, -v125                             // 000000006074: D1CB0039 85F47339
	v_fma_f32 v58, v58, s57, -v126                             // 00000000607C: D1CB003A 85F8733A
	v_fma_f32 v59, v59, s57, -v127                             // 000000006084: D1CB003B 85FC733B
	v_mfma_f32_16x16x16_bf16 v[72:75], v[104:105], a[108:109], v[72:75]// 00000000608C: D3E10048 1522D968
	v_exp_f32_e32 v48, v48                                     // 000000006094: 7E604130
	v_mfma_f32_16x16x16_bf16 v[72:75], v[106:107], a[110:111], v[72:75]// 000000006098: D3E10048 1522DD6A
	v_exp_f32_e32 v49, v49                                     // 0000000060A0: 7E624131
	v_mfma_f32_16x16x16_bf16 v[76:79], v[92:93], a[112:113], 0 // 0000000060A4: D3E1004C 1202E15C
	ds_read_b32 v136, v21 offset:24320                         // 0000000060AC: D86C5F00 88000015
	ds_read_b32 v137, v21 offset:24336                         // 0000000060B4: D86C5F10 89000015
	v_mfma_f32_16x16x16_bf16 v[76:79], v[94:95], a[114:115], v[76:79]// 0000000060BC: D3E1004C 1532E55E
	v_exp_f32_e32 v50, v50                                     // 0000000060C4: 7E644132
	v_mfma_f32_16x16x16_bf16 v[76:79], v[96:97], a[116:117], v[76:79]// 0000000060C8: D3E1004C 1532E960
	ds_read_b32 v138, v21 offset:26496                         // 0000000060D0: D86C6780 8A000015
	ds_read_b32 v139, v21 offset:26512                         // 0000000060D8: D86C6790 8B000015
	v_mfma_f32_16x16x16_bf16 v[76:79], v[98:99], a[118:119], v[76:79]// 0000000060E0: D3E1004C 1532ED62
	v_exp_f32_e32 v51, v51                                     // 0000000060E8: 7E664133
	v_mfma_f32_16x16x16_bf16 v[76:79], v[100:101], a[120:121], v[76:79]// 0000000060EC: D3E1004C 1532F164
	v_exp_f32_e32 v52, v52                                     // 0000000060F4: 7E684134
	v_mfma_f32_16x16x16_bf16 v[76:79], v[102:103], a[122:123], v[76:79]// 0000000060F8: D3E1004C 1532F566
	v_exp_f32_e32 v53, v53                                     // 000000006100: 7E6A4135
	v_mfma_f32_16x16x16_bf16 v[76:79], v[104:105], a[124:125], v[76:79]// 000000006104: D3E1004C 1532F968
	v_exp_f32_e32 v54, v54                                     // 00000000610C: 7E6C4136
	v_mfma_f32_16x16x16_bf16 v[76:79], v[106:107], a[126:127], v[76:79]// 000000006110: D3E1004C 1532FD6A
	v_exp_f32_e32 v55, v55                                     // 000000006118: 7E6E4137
	v_mfma_f32_16x16x16_bf16 v[80:83], v[92:93], a[128:129], 0 // 00000000611C: D3E10050 1203015C
	v_exp_f32_e32 v56, v56                                     // 000000006124: 7E704138
	v_mfma_f32_16x16x16_bf16 v[80:83], v[94:95], a[130:131], v[80:83]// 000000006128: D3E10050 1543055E
	v_exp_f32_e32 v57, v57                                     // 000000006130: 7E724139
	v_mfma_f32_16x16x16_bf16 v[80:83], v[96:97], a[132:133], v[80:83]// 000000006134: D3E10050 15430960
	v_exp_f32_e32 v58, v58                                     // 00000000613C: 7E74413A
	v_mfma_f32_16x16x16_bf16 v[80:83], v[98:99], a[134:135], v[80:83]// 000000006140: D3E10050 15430D62
	v_exp_f32_e32 v59, v59                                     // 000000006148: 7E76413B
	v_mfma_f32_16x16x16_bf16 v[80:83], v[100:101], a[136:137], v[80:83]// 00000000614C: D3E10050 15431164
	v_perm_b32 v144, v49, v48, s64                             // 000000006154: D1ED0090 01026131
	v_perm_b32 v145, v51, v50, s64                             // 00000000615C: D1ED0091 01026533
	v_perm_b32 v146, v53, v52, s64                             // 000000006164: D1ED0092 01026935
	v_mfma_f32_16x16x16_bf16 v[80:83], v[102:103], a[138:139], v[80:83]// 00000000616C: D3E10050 15431566
	v_perm_b32 v147, v55, v54, s64                             // 000000006174: D1ED0093 01026D37
	v_perm_b32 v148, v57, v56, s64                             // 00000000617C: D1ED0094 01027139
	v_perm_b32 v149, v59, v58, s64                             // 000000006184: D1ED0095 0102753B
	v_mfma_f32_16x16x16_bf16 v[80:83], v[104:105], a[140:141], v[80:83]// 00000000618C: D3E10050 15431968
	s_add_u32 s32, s66, s32                                    // 000000006194: 80202042
	s_addc_u32 s33, 0, s33                                     // 000000006198: 82212180
	v_mfma_f32_16x16x16_bf16 v[80:83], v[106:107], a[142:143], v[80:83]// 00000000619C: D3E10050 15431D6A
	s_waitcnt lgkmcnt(0)                                       // 0000000061A4: BF8CC07F
	s_barrier                                                  // 0000000061A8: BF8A0000
	v_mfma_f32_16x16x16_bf16 v[152:155], v[108:109], v[144:145], v[152:155]// 0000000061AC: D3E10098 0663216C
	v_subrev_f32_dpp v72, v150, v72 quad_perm:[0,0,0,0] row_mask:0xf bank_mask:0xf// 0000000061B4: 069090FA FF000096
	v_subrev_f32_dpp v73, v150, v73 quad_perm:[1,1,1,1] row_mask:0xf bank_mask:0xf// 0000000061BC: 069292FA FF005596
	v_subrev_f32_dpp v74, v150, v74 quad_perm:[2,2,2,2] row_mask:0xf bank_mask:0xf// 0000000061C4: 069494FA FF00AA96
	v_mfma_f32_16x16x16_bf16 v[156:159], v[110:111], v[144:145], v[156:159]// 0000000061CC: D3E1009C 0673216E
	v_subrev_f32_dpp v75, v150, v75 quad_perm:[3,3,3,3] row_mask:0xf bank_mask:0xf// 0000000061D4: 069696FA FF00FF96
	v_subrev_f32_dpp v76, v150, v76 quad_perm:[0,0,0,0] row_mask:0xf bank_mask:0xf// 0000000061DC: 069898FA FF000096
	v_subrev_f32_dpp v77, v150, v77 quad_perm:[1,1,1,1] row_mask:0xf bank_mask:0xf// 0000000061E4: 069A9AFA FF005596
	v_mfma_f32_16x16x16_bf16 v[160:163], v[112:113], v[144:145], v[160:163]// 0000000061EC: D3E100A0 06832170
	v_mul_f32_e32 v72, v48, v72                                // 0000000061F4: 0A909130
	v_mul_f32_e32 v73, v49, v73                                // 0000000061F8: 0A929331
	v_mul_f32_e32 v74, v50, v74                                // 0000000061FC: 0A949532
	v_mfma_f32_16x16x16_bf16 v[164:167], v[114:115], v[144:145], v[164:167]// 000000006200: D3E100A4 06932172
	v_mul_f32_e32 v75, v51, v75                                // 000000006208: 0A969733
	v_mul_f32_e32 v76, v52, v76                                // 00000000620C: 0A989934
	v_mul_f32_e32 v77, v53, v77                                // 000000006210: 0A9A9B35
	v_mfma_f32_16x16x16_bf16 v[168:171], v[116:117], v[144:145], v[168:171]// 000000006214: D3E100A8 06A32174
	v_perm_b32 v72, v73, v72, s64                              // 00000000621C: D1ED0048 01029149
	v_perm_b32 v73, v75, v74, s64                              // 000000006224: D1ED0049 0102954B
	v_perm_b32 v74, v77, v76, s64                              // 00000000622C: D1ED004A 0102994D
	v_mfma_f32_16x16x16_bf16 v[172:175], v[118:119], v[144:145], v[172:175]// 000000006234: D3E100AC 06B32176
	v_mov_b32_dpp v18, v72 quad_perm:[1,0,3,2] row_mask:0xf bank_mask:0xf// 00000000623C: 7E2402FA FF00B148
	v_perm_b32 v48, v18, v72, v17                              // 000000006244: D1ED0030 04469112
	v_mov_b32_dpp v18, v73 quad_perm:[1,0,3,2] row_mask:0xf bank_mask:0xf// 00000000624C: 7E2402FA FF00B149
	v_mfma_f32_16x16x16_bf16 v[176:179], v[120:121], v[144:145], v[176:179]// 000000006254: D3E100B0 06C32178
	v_perm_b32 v49, v18, v73, v17                              // 00000000625C: D1ED0031 04469312
	v_mov_b32_dpp v18, v74 quad_perm:[1,0,3,2] row_mask:0xf bank_mask:0xf// 000000006264: 7E2402FA FF00B14A
	v_perm_b32 v50, v18, v74, v17                              // 00000000626C: D1ED0032 04469512
	v_mfma_f32_16x16x16_bf16 v[180:183], v[122:123], v[144:145], v[180:183]// 000000006274: D3E100B4 06D3217A
	ds_write_b32 v20, v48 offset:17408                         // 00000000627C: D81A4400 00003014
	v_mfma_f32_16x16x16_bf16 v[184:187], v[108:109], v[146:147], v[184:187]// 000000006284: D3E100B8 06E3256C
	v_subrev_f32_dpp v78, v150, v78 quad_perm:[2,2,2,2] row_mask:0xf bank_mask:0xf// 00000000628C: 069C9CFA FF00AA96
	v_subrev_f32_dpp v79, v150, v79 quad_perm:[3,3,3,3] row_mask:0xf bank_mask:0xf// 000000006294: 069E9EFA FF00FF96
	v_subrev_f32_dpp v80, v150, v80 quad_perm:[0,0,0,0] row_mask:0xf bank_mask:0xf// 00000000629C: 06A0A0FA FF000096
	v_mfma_f32_16x16x16_bf16 v[188:191], v[110:111], v[146:147], v[188:191]// 0000000062A4: D3E100BC 06F3256E
	ds_write_b32 v20, v49 offset:17952                         // 0000000062AC: D81A4620 00003114
	v_mfma_f32_16x16x16_bf16 v[192:195], v[112:113], v[146:147], v[192:195]// 0000000062B4: D3E100C0 07032570
	v_subrev_f32_dpp v81, v150, v81 quad_perm:[1,1,1,1] row_mask:0xf bank_mask:0xf// 0000000062BC: 06A2A2FA FF005596
	v_subrev_f32_dpp v82, v150, v82 quad_perm:[2,2,2,2] row_mask:0xf bank_mask:0xf// 0000000062C4: 06A4A4FA FF00AA96
	v_subrev_f32_dpp v83, v150, v83 quad_perm:[3,3,3,3] row_mask:0xf bank_mask:0xf// 0000000062CC: 06A6A6FA FF00FF96
	v_mfma_f32_16x16x16_bf16 v[196:199], v[114:115], v[146:147], v[196:199]// 0000000062D4: D3E100C4 07132572
	ds_write_b32 v20, v50 offset:19712                         // 0000000062DC: D81A4D00 00003214
	v_mfma_f32_16x16x16_bf16 v[200:203], v[116:117], v[146:147], v[200:203]// 0000000062E4: D3E100C8 07232574
	v_mul_f32_e32 v78, v54, v78                                // 0000000062EC: 0A9C9D36
	v_mul_f32_e32 v79, v55, v79                                // 0000000062F0: 0A9E9F37
	v_mul_f32_e32 v80, v56, v80                                // 0000000062F4: 0AA0A138
	v_mfma_f32_16x16x16_bf16 v[204:207], v[118:119], v[146:147], v[204:207]// 0000000062F8: D3E100CC 07332576
	v_mul_f32_e32 v81, v57, v81                                // 000000006300: 0AA2A339
	v_mul_f32_e32 v82, v58, v82                                // 000000006304: 0AA4A53A
	v_mul_f32_e32 v83, v59, v83                                // 000000006308: 0AA6A73B
	v_mfma_f32_16x16x16_bf16 v[208:211], v[120:121], v[146:147], v[208:211]// 00000000630C: D3E100D0 07432578
	v_perm_b32 v75, v79, v78, s64                              // 000000006314: D1ED004B 01029D4F
	v_perm_b32 v76, v81, v80, s64                              // 00000000631C: D1ED004C 0102A151
	v_perm_b32 v77, v83, v82, s64                              // 000000006324: D1ED004D 0102A553
	v_mfma_f32_16x16x16_bf16 v[212:215], v[122:123], v[146:147], v[212:215]// 00000000632C: D3E100D4 0753257A
	v_mov_b32_dpp v18, v75 quad_perm:[1,0,3,2] row_mask:0xf bank_mask:0xf// 000000006334: 7E2402FA FF00B14B
	v_perm_b32 v51, v18, v75, v17                              // 00000000633C: D1ED0033 04469712
	v_mov_b32_dpp v18, v76 quad_perm:[1,0,3,2] row_mask:0xf bank_mask:0xf// 000000006344: 7E2402FA FF00B14C
	v_mfma_f32_16x16x16_bf16 v[216:219], v[108:109], v[148:149], v[216:219]// 00000000634C: D3E100D8 0763296C
	v_perm_b32 v52, v18, v76, v17                              // 000000006354: D1ED0034 04469912
	v_mov_b32_dpp v18, v77 quad_perm:[1,0,3,2] row_mask:0xf bank_mask:0xf// 00000000635C: 7E2402FA FF00B14D
	v_perm_b32 v53, v18, v77, v17                              // 000000006364: D1ED0035 04469B12
	v_mfma_f32_16x16x16_bf16 v[220:223], v[110:111], v[148:149], v[220:223]// 00000000636C: D3E100DC 0773296E
	ds_write_b32 v20, v51 offset:20256                         // 000000006374: D81A4F20 00003314
	v_mfma_f32_16x16x16_bf16 v[224:227], v[112:113], v[148:149], v[224:227]// 00000000637C: D3E100E0 07832970
	v_mfma_f32_16x16x16_bf16 v[228:231], v[114:115], v[148:149], v[228:231]// 000000006384: D3E100E4 07932972
	ds_write_b32 v20, v52 offset:22016                         // 00000000638C: D81A5600 00003414
	ds_write_b32 v20, v53 offset:22560                         // 000000006394: D81A5820 00003514
	v_mfma_f32_16x16x16_bf16 v[232:235], v[116:117], v[148:149], v[232:235]// 00000000639C: D3E100E8 07A32974
	v_mfma_f32_16x16x16_bf16 v[236:239], v[118:119], v[148:149], v[236:239]// 0000000063A4: D3E100EC 07B32976
	ds_write_b32 v15, v84 offset:4352                          // 0000000063AC: D81A1100 0000540F
	ds_write_b32 v15, v85 offset:5408                          // 0000000063B4: D81A1520 0000550F
	v_mfma_f32_16x16x16_bf16 v[240:243], v[120:121], v[148:149], v[240:243]// 0000000063BC: D3E100F0 07C32978
	s_nop 0                                                    // 0000000063C4: BF800000
	s_nop 0                                                    // 0000000063C8: BF800000
	s_nop 0                                                    // 0000000063CC: BF800000
	v_mfma_f32_16x16x16_bf16 v[244:247], v[122:123], v[148:149], v[244:247]// 0000000063D0: D3E100F4 07D3297A
	ds_write_b32 v15, v86 offset:4480                          // 0000000063D8: D81A1180 0000560F
	ds_write_b32 v15, v87 offset:5536                          // 0000000063E0: D81A15A0 0000570F
	s_barrier                                                  // 0000000063E8: BF8A0000
	v_mfma_f32_16x16x16_bf16 a[160:163], a[144:145], v[72:73], a[160:163]// 0000000063EC: D3E180A0 0E829190
	global_atomic_pk_add_bf16 v6, v136, s[32:33]               // 0000000063F4: DD488000 00208806
	v_mfma_f32_16x16x16_bf16 a[164:167], a[146:147], v[72:73], a[164:167]// 0000000063FC: D3E180A4 0E929192
	ds_read_b32 v124, v23 offset:51200                         // 000000006404: D86CC800 7C000017
	ds_read_b32 v150, v23 offset:51456                         // 00000000640C: D86CC900 96000017
	v_mfma_f32_16x16x16_bf16 a[168:171], a[148:149], v[72:73], a[168:171]// 000000006414: D3E180A8 0EA29194
	s_waitcnt lgkmcnt(6)                                       // 00000000641C: BF8CC67F
	s_barrier                                                  // 000000006420: BF8A0000
	v_mfma_f32_16x16x16_bf16 a[172:175], a[150:151], v[72:73], a[172:175]// 000000006424: D3E180AC 0EB29196
	ds_read_b128 v[48:51], v19 offset:17408                    // 00000000642C: D9FE4400 30000013
	v_mfma_f32_16x16x16_bf16 a[176:179], a[152:153], v[72:73], a[176:179]// 000000006434: D3E180B0 0EC29198
	v_mfma_f32_16x16x16_bf16 a[180:183], a[154:155], v[72:73], a[180:183]// 00000000643C: D3E180B4 0ED2919A
	ds_read_b128 v[52:55], v19 offset:18560                    // 000000006444: D9FE4880 34000013
	v_mfma_f32_16x16x16_bf16 a[184:187], a[156:157], v[72:73], a[184:187]// 00000000644C: D3E180B8 0EE2919C
	global_atomic_pk_add_bf16 v8, v137, s[32:33]               // 000000006454: DD488000 00208908
	v_mfma_f32_16x16x16_bf16 a[188:191], a[158:159], v[72:73], a[188:191]// 00000000645C: D3E180BC 0EF2919E
	ds_read_b128 v[56:59], v19 offset:19712                    // 000000006464: D9FE4D00 38000013
	v_mfma_f32_16x16x16_bf16 a[192:195], a[144:145], v[74:75], a[192:195]// 00000000646C: D3E180C0 0F029590
	v_mfma_f32_16x16x16_bf16 a[196:199], a[146:147], v[74:75], a[196:199]// 000000006474: D3E180C4 0F129592
	ds_read_b128 v[60:63], v19 offset:20864                    // 00000000647C: D9FE5180 3C000013
	v_mfma_f32_16x16x16_bf16 a[200:203], a[148:149], v[74:75], a[200:203]// 000000006484: D3E180C8 0F229594
	v_mfma_f32_16x16x16_bf16 a[204:207], a[150:151], v[74:75], a[204:207]// 00000000648C: D3E180CC 0F329596
	ds_read_b128 v[64:67], v19 offset:22016                    // 000000006494: D9FE5600 40000013
	v_mfma_f32_16x16x16_bf16 a[208:211], a[152:153], v[74:75], a[208:211]// 00000000649C: D3E180D0 0F429598
	global_atomic_pk_add_bf16 v6, v138, s[32:33] offset:128    // 0000000064A4: DD488080 00208A06
	v_mfma_f32_16x16x16_bf16 a[212:215], a[154:155], v[74:75], a[212:215]// 0000000064AC: D3E180D4 0F52959A
	ds_read_b128 v[68:71], v19 offset:23168                    // 0000000064B4: D9FE5A80 44000013
	v_mfma_f32_16x16x16_bf16 a[216:219], a[156:157], v[74:75], a[216:219]// 0000000064BC: D3E180D8 0F62959C
	v_mfma_f32_16x16x16_bf16 a[220:223], a[158:159], v[74:75], a[220:223]// 0000000064C4: D3E180DC 0F72959E
	ds_write_b32 v15, v88 offset:13056                         // 0000000064CC: D81A3300 0000580F
	v_mfma_f32_16x16x16_bf16 a[224:227], a[144:145], v[76:77], a[224:227]// 0000000064D4: D3E180E0 0F829990
	v_mfma_f32_16x16x16_bf16 a[228:231], a[146:147], v[76:77], a[228:231]// 0000000064DC: D3E180E4 0F929992
	ds_write_b32 v15, v89 offset:14112                         // 0000000064E4: D81A3720 0000590F
	v_mfma_f32_16x16x16_bf16 a[232:235], a[148:149], v[76:77], a[232:235]// 0000000064EC: D3E180E8 0FA29994
	global_atomic_pk_add_bf16 v8, v139, s[32:33] offset:128    // 0000000064F4: DD488080 00208B08
	v_mfma_f32_16x16x16_bf16 a[236:239], a[150:151], v[76:77], a[236:239]// 0000000064FC: D3E180EC 0FB29996
	ds_write_b32 v15, v90 offset:13184                         // 000000006504: D81A3380 00005A0F
	v_mfma_f32_16x16x16_bf16 a[240:243], a[152:153], v[76:77], a[240:243]// 00000000650C: D3E180F0 0FC29998
	v_mfma_f32_16x16x16_bf16 a[244:247], a[154:155], v[76:77], a[244:247]// 000000006514: D3E180F4 0FD2999A
	ds_write_b32 v15, v91 offset:14240                         // 00000000651C: D81A37A0 00005B0F
	v_mfma_f32_16x16x16_bf16 a[248:251], a[156:157], v[76:77], a[248:251]// 000000006524: D3E180F8 0FE2999C
	v_mfma_f32_16x16x16_bf16 a[252:255], a[158:159], v[76:77], a[252:255]// 00000000652C: D3E180FC 0FF2999E
	s_waitcnt vmcnt(4) lgkmcnt(4)                              // 000000006534: BF8C0474
	s_barrier                                                  // 000000006538: BF8A0000
	v_mfma_f32_16x16x16_bf16 v[128:131], a[48:49], v[48:49], 0 // 00000000653C: D3E10080 0A026130
	v_mul_f32_e32 v124, s49, v124                              // 000000006544: 0AF8F831
	s_nop 0                                                    // 000000006548: BF800000
	v_mfma_f32_16x16x16_bf16 v[128:131], a[52:53], v[50:51], v[128:131]// 00000000654C: D3E10080 0E026534
	ds_read_b128 a[144:147], v12                               // 000000006554: DBFE0000 9000000C
	buffer_load_dword v36, v1, s[8:11], 0 idxen                // 00000000655C: E0502000 80022401
	v_mfma_f32_16x16x16_bf16 v[128:131], a[56:57], v[52:53], v[128:131]// 000000006564: D3E10080 0E026938
	v_mfma_f32_16x16x16_bf16 v[128:131], a[60:61], v[54:55], v[128:131]// 00000000656C: D3E10080 0E026D3C
	ds_read_b128 a[148:151], v12 offset:512                    // 000000006574: DBFE0200 9400000C
	buffer_load_dword v37, v2, s[8:11], 0 idxen                // 00000000657C: E0502000 80022502
	v_mfma_f32_16x16x16_bf16 v[128:131], a[64:65], v[56:57], v[128:131]// 000000006584: D3E10080 0E027140
	v_perm_b32 v84, v33, v32, s63                              // 00000000658C: D1ED0054 00FE4121
	v_perm_b32 v85, v33, v32, s64                              // 000000006594: D1ED0055 01024121
	v_mfma_f32_16x16x16_bf16 v[128:131], a[68:69], v[58:59], v[128:131]// 00000000659C: D3E10080 0E027544
	ds_read_b128 a[152:155], v12 offset:2176                   // 0000000065A4: DBFE0880 9800000C
	buffer_load_dword v38, v3, s[8:11], 0 idxen                // 0000000065AC: E0502000 80022603
	v_mfma_f32_16x16x16_bf16 v[128:131], a[72:73], v[60:61], v[128:131]// 0000000065B4: D3E10080 0E027948
	v_perm_b32 v86, v35, v34, s63                              // 0000000065BC: D1ED0056 00FE4523
	v_perm_b32 v87, v35, v34, s64                              // 0000000065C4: D1ED0057 01024523
	v_mfma_f32_16x16x16_bf16 v[128:131], a[76:77], v[62:63], v[128:131]// 0000000065CC: D3E10080 0E027D4C
	ds_read_b128 a[156:159], v12 offset:2688                   // 0000000065D4: DBFE0A80 9C00000C
	buffer_load_dword v39, v4, s[8:11], 0 idxen                // 0000000065DC: E0502000 80022704
	v_mfma_f32_16x16x16_bf16 v[128:131], a[80:81], v[64:65], v[128:131]// 0000000065E4: D3E10080 0E028150
	v_perm_b32 v88, v41, v40, s63                              // 0000000065EC: D1ED0058 00FE5129
	v_perm_b32 v89, v41, v40, s64                              // 0000000065F4: D1ED0059 01025129
	v_mfma_f32_16x16x16_bf16 v[128:131], a[84:85], v[66:67], v[128:131]// 0000000065FC: D3E10080 0E028554
	ds_read_b128 v[92:95], v12 offset:8704                     // 000000006604: D9FE2200 5C00000C
	buffer_load_dword v44, v1, s[20:23], 0 idxen               // 00000000660C: E0502000 80052C01
	v_mfma_f32_16x16x16_bf16 v[128:131], a[88:89], v[68:69], v[128:131]// 000000006614: D3E10080 0E028958
	v_perm_b32 v90, v43, v42, s63                              // 00000000661C: D1ED005A 00FE552B
	v_perm_b32 v91, v43, v42, s64                              // 000000006624: D1ED005B 0102552B
	v_mfma_f32_16x16x16_bf16 v[128:131], a[92:93], v[70:71], v[128:131]// 00000000662C: D3E10080 0E028D5C
	ds_read_b128 v[96:99], v12 offset:9216                     // 000000006634: D9FE2400 6000000C
	buffer_load_dword v45, v2, s[20:23], 0 idxen               // 00000000663C: E0502000 80052D02
	v_mfma_f32_16x16x16_bf16 v[132:135], a[50:51], v[48:49], 0 // 000000006644: D3E10084 0A026132
	v_mov_b32_dpp v127, v124 quad_perm:[3,3,3,3] row_mask:0xf bank_mask:0xf// 00000000664C: 7EFE02FA FF00FF7C
	v_mov_b32_dpp v126, v124 quad_perm:[2,2,2,2] row_mask:0xf bank_mask:0xf// 000000006654: 7EFC02FA FF00AA7C
	v_mfma_f32_16x16x16_bf16 v[132:135], a[54:55], v[50:51], v[132:135]// 00000000665C: D3E10084 0E126536
	ds_read_b128 v[100:103], v12 offset:10880                  // 000000006664: D9FE2A80 6400000C
	buffer_load_dword v46, v3, s[20:23], 0 idxen               // 00000000666C: E0502000 80052E03
	v_mfma_f32_16x16x16_bf16 v[132:135], a[58:59], v[52:53], v[132:135]// 000000006674: D3E10084 0E12693A
	v_mov_b32_dpp v125, v124 quad_perm:[1,1,1,1] row_mask:0xf bank_mask:0xf// 00000000667C: 7EFA02FA FF00557C
	v_mov_b32_dpp v124, v124 quad_perm:[0,0,0,0] row_mask:0xf bank_mask:0xf// 000000006684: 7EF802FA FF00007C
	s_add_u32 s60, 64, s59                                     // 00000000668C: 803C3BC0
	v_mfma_f32_16x16x16_bf16 v[132:135], a[62:63], v[54:55], v[132:135]// 000000006690: D3E10084 0E126D3E
	ds_read_b128 v[104:107], v12 offset:11392                  // 000000006698: D9FE2C80 6800000C
	buffer_load_dword v47, v4, s[20:23], 0 idxen               // 0000000066A0: E0502000 80052F04
	v_mfma_f32_16x16x16_bf16 v[132:135], a[66:67], v[56:57], v[132:135]// 0000000066A8: D3E10084 0E127142
	s_cmp_lt_u32 s60, s58                                      // 0000000066B0: BF0A3A3C
	s_cselect_b32 s68, s68, 0                                  // 0000000066B4: 85448044
	s_cselect_b32 s69, s69, 0                                  // 0000000066B8: 85458045
	v_mfma_f32_16x16x16_bf16 v[132:135], a[70:71], v[58:59], v[132:135]// 0000000066BC: D3E10084 0E127546
	buffer_load_dword v11, s[24:27], 0 idxen lds               // 0000000066C4: E0512000 8006000B
	v_mfma_f32_16x16x16_bf16 v[132:135], a[74:75], v[60:61], v[132:135]// 0000000066CC: D3E10084 0E12794A
	s_add_u32 s8, s68, s8                                      // 0000000066D4: 80080844
	s_addc_u32 s9, 0, s9                                       // 0000000066D8: 82090980
	v_mfma_f32_16x16x16_bf16 v[132:135], a[78:79], v[62:63], v[132:135]// 0000000066DC: D3E10084 0E127D4E
	s_add_u32 s20, s68, s20                                    // 0000000066E4: 80141444
	s_addc_u32 s21, 0, s21                                     // 0000000066E8: 82151580
	v_mfma_f32_16x16x16_bf16 v[132:135], a[82:83], v[64:65], v[132:135]// 0000000066EC: D3E10084 0E128152
	s_mov_b32 m0, s80                                          // 0000000066F4: BEFC0050
	v_add_u32_e32 v11, s69, v11                                // 0000000066F8: 68161645
	v_mfma_f32_16x16x16_bf16 v[132:135], a[86:87], v[66:67], v[132:135]// 0000000066FC: D3E10084 0E128556
	s_cmp_ge_u32 s59, s73                                      // 000000006704: BF09493B
	s_cselect_b32 s66, s67, s66                                // 000000006708: 85424243
	v_mfma_f32_16x16x16_bf16 v[132:135], a[90:91], v[68:69], v[132:135]// 00000000670C: D3E10084 0E12895A
	s_addk_i32 s59, 0x10                                       // 000000006714: B73B0010
	s_nop 0                                                    // 000000006718: BF800000
	s_cmp_lt_i32 s59, s58                                      // 00000000671C: BF043A3B
	v_mfma_f32_16x16x16_bf16 v[132:135], a[94:95], v[70:71], v[132:135]// 000000006720: D3E10084 0E128D5E
	s_cbranch_scc0 label_0CF8                                  // 000000006728: BF8402AD
	s_waitcnt lgkmcnt(4)                                       // 00000000672C: BF8CC47F
	s_barrier                                                  // 000000006730: BF8A0000
	v_mfma_f32_16x16x16_bf16 v[48:51], a[144:145], a[0:1], 0   // 000000006734: D3E10030 1A020190
	ds_write_b32 v13, v40 offset:8704                          // 00000000673C: D81A2200 0000280D
	ds_write_b32 v13, v41 offset:9760                          // 000000006744: D81A2620 0000290D
	v_mfma_f32_16x16x16_bf16 v[48:51], a[146:147], a[2:3], v[48:51]// 00000000674C: D3E10030 1CC20592
	v_mul_f32_e32 v128, s48, v128                              // 000000006754: 0B010030
	v_mul_f32_e32 v129, s48, v129                              // 000000006758: 0B030230
	v_mfma_f32_16x16x16_bf16 v[48:51], a[148:149], a[4:5], v[48:51]// 00000000675C: D3E10030 1CC20994
	ds_write_b32 v13, v42 offset:8832                          // 000000006764: D81A2280 00002A0D
	ds_write_b32 v13, v43 offset:9888                          // 00000000676C: D81A26A0 00002B0D
	v_mfma_f32_16x16x16_bf16 v[48:51], a[150:151], a[6:7], v[48:51]// 000000006774: D3E10030 1CC20D96
	v_mul_f32_e32 v130, s48, v130                              // 00000000677C: 0B050430
	v_mul_f32_e32 v131, s48, v131                              // 000000006780: 0B070630
	v_mfma_f32_16x16x16_bf16 v[48:51], a[152:153], a[8:9], v[48:51]// 000000006784: D3E10030 1CC21198
	v_mul_f32_e32 v132, s48, v132                              // 00000000678C: 0B090830
	v_mul_f32_e32 v133, s48, v133                              // 000000006790: 0B0B0A30
	v_mfma_f32_16x16x16_bf16 v[48:51], a[154:155], a[10:11], v[48:51]// 000000006794: D3E10030 1CC2159A
	v_mul_f32_e32 v134, s48, v134                              // 00000000679C: 0B0D0C30
	v_mul_f32_e32 v135, s48, v135                              // 0000000067A0: 0B0F0E30
	v_mfma_f32_16x16x16_bf16 v[48:51], a[156:157], a[12:13], v[48:51]// 0000000067A4: D3E10030 1CC2199C
	v_perm_b32 v128, v129, v128, s64                           // 0000000067AC: D1ED0080 01030181
	v_perm_b32 v129, v131, v130, s64                           // 0000000067B4: D1ED0081 01030583
	v_mfma_f32_16x16x16_bf16 v[48:51], a[158:159], a[14:15], v[48:51]// 0000000067BC: D3E10030 1CC21D9E
	v_perm_b32 v130, v133, v132, s64                           // 0000000067C4: D1ED0082 01030985
	v_perm_b32 v131, v135, v134, s64                           // 0000000067CC: D1ED0083 01030D87
	v_mfma_f32_16x16x16_bf16 v[52:55], a[144:145], a[16:17], 0 // 0000000067D4: D3E10034 1A022190
	ds_write_b64 v22, v[128:129] offset:24320                  // 0000000067DC: D89A5F00 00008016
	v_mfma_f32_16x16x16_bf16 v[52:55], a[146:147], a[18:19], v[52:55]// 0000000067E4: D3E10034 1CD22592
	v_mfma_f32_16x16x16_bf16 v[52:55], a[148:149], a[20:21], v[52:55]// 0000000067EC: D3E10034 1CD22994
	ds_write_b64 v22, v[130:131] offset:24864                  // 0000000067F4: D89A6120 00008216
	v_mfma_f32_16x16x16_bf16 v[52:55], a[150:151], a[22:23], v[52:55]// 0000000067FC: D3E10034 1CD22D96
	v_mfma_f32_16x16x16_bf16 v[52:55], a[152:153], a[24:25], v[52:55]// 000000006804: D3E10034 1CD23198
	ds_read_b128 v[108:111], v14 offset:13056                  // 00000000680C: D9FE3300 6C00000E
	ds_write_b32 v13, v32                                      // 000000006814: D81A0000 0000200D
	v_mfma_f32_16x16x16_bf16 v[52:55], a[154:155], a[26:27], v[52:55]// 00000000681C: D3E10034 1CD2359A
	v_mfma_f32_16x16x16_bf16 v[52:55], a[156:157], a[28:29], v[52:55]// 000000006824: D3E10034 1CD2399C
	v_mfma_f32_16x16x16_bf16 v[52:55], a[158:159], a[30:31], v[52:55]// 00000000682C: D3E10034 1CD23D9E
	ds_read_b128 v[112:115], v14 offset:13568                  // 000000006834: D9FE3500 7000000E
	ds_write_b32 v13, v33 offset:1056                          // 00000000683C: D81A0420 0000210D
	v_mfma_f32_16x16x16_bf16 v[56:59], a[144:145], a[32:33], 0 // 000000006844: D3E10038 1A024190
	v_mfma_f32_16x16x16_bf16 v[56:59], a[146:147], a[34:35], v[56:59]// 00000000684C: D3E10038 1CE24592
	v_mfma_f32_16x16x16_bf16 v[56:59], a[148:149], a[36:37], v[56:59]// 000000006854: D3E10038 1CE24994
	ds_read_b128 v[116:119], v14 offset:15232                  // 00000000685C: D9FE3B80 7400000E
	ds_write_b32 v13, v34 offset:128                           // 000000006864: D81A0080 0000220D
	v_mfma_f32_16x16x16_bf16 v[56:59], a[150:151], a[38:39], v[56:59]// 00000000686C: D3E10038 1CE24D96
	v_mfma_f32_16x16x16_bf16 v[56:59], a[152:153], a[40:41], v[56:59]// 000000006874: D3E10038 1CE25198
	v_mfma_f32_16x16x16_bf16 v[56:59], a[154:155], a[42:43], v[56:59]// 00000000687C: D3E10038 1CE2559A
	ds_read_b128 v[120:123], v14 offset:15744                  // 000000006884: D9FE3D80 7800000E
	ds_write_b32 v13, v35 offset:1184                          // 00000000688C: D81A04A0 0000230D
	v_mfma_f32_16x16x16_bf16 v[56:59], a[156:157], a[44:45], v[56:59]// 000000006894: D3E10038 1CE2599C
	v_mfma_f32_16x16x16_bf16 v[56:59], a[158:159], a[46:47], v[56:59]// 00000000689C: D3E10038 1CE25D9E
	s_cmp_lt_i32 s74, 12                                       // 0000000068A4: BF048C4A
	s_cbranch_scc0 label_0B20                                  // 0000000068A8: BF840075
	s_mov_b32 s60, 0xffe0fffe                                  // 0000000068AC: BEBC00FF FFE0FFFE
	s_mov_b32 s61, 0xe000fe00                                  // 0000000068B4: BEBD00FF E000FE00
	s_nop 0                                                    // 0000000068BC: BF800000
	s_add_u32 s62, 0, s47                                      // 0000000068C0: 803E2F80
	s_cmp_lt_i32 s74, s62                                      // 0000000068C4: BF043E4A
	s_cbranch_scc1 label_0ADB                                  // 0000000068C8: BF850028
	s_cmp_eq_i32 s74, s62                                      // 0000000068CC: BF003E4A
	s_cbranch_scc1 label_0AC0                                  // 0000000068D0: BF85000B
	s_add_u32 s62, 4, s47                                      // 0000000068D4: 803E2F84
	s_cmp_lt_i32 s74, s62                                      // 0000000068D8: BF043E4A
	s_cbranch_scc1 label_0AFB                                  // 0000000068DC: BF850043
	s_cmp_eq_i32 s74, s62                                      // 0000000068E0: BF003E4A
	s_cbranch_scc1 label_0AE0                                  // 0000000068E4: BF850026
	s_add_u32 s62, 8, s47                                      // 0000000068E8: 803E2F88
	s_cmp_lt_i32 s74, s62                                      // 0000000068EC: BF043E4A
	s_cbranch_scc1 label_0B1B                                  // 0000000068F0: BF85005E
	s_cmp_eq_i32 s74, s62                                      // 0000000068F4: BF003E4A
	s_cbranch_scc1 label_0B00                                  // 0000000068F8: BF850041
	s_branch label_0B20                                        // 0000000068FC: BF820060

0000000000006900 <label_0AC0>:
	v_cndmask_b32_e64 v48, v48, v151, s[60:61]                 // 000000006900: D1000030 00F32F30
	s_lshl_b32 s60, s60, 1                                     // 000000006908: 8E3C813C
	s_lshl_b32 s61, s61, 1                                     // 00000000690C: 8E3D813D
	s_and_b32 s60, 0xfffeffff, s60                             // 000000006910: 863C3CFF FFFEFFFF
	s_and_b32 s61, 0xfffeffff, s61                             // 000000006918: 863D3DFF FFFEFFFF
	v_cndmask_b32_e64 v49, v49, v151, s[60:61]                 // 000000006920: D1000031 00F32F31
	s_lshl_b32 s60, s60, 1                                     // 000000006928: 8E3C813C
	s_lshl_b32 s61, s61, 1                                     // 00000000692C: 8E3D813D
	s_and_b32 s60, 0xfffeffff, s60                             // 000000006930: 863C3CFF FFFEFFFF
	s_and_b32 s61, 0xfffeffff, s61                             // 000000006938: 863D3DFF FFFEFFFF
	v_cndmask_b32_e64 v50, v50, v151, s[60:61]                 // 000000006940: D1000032 00F32F32
	s_lshl_b32 s60, s60, 1                                     // 000000006948: 8E3C813C
	s_lshl_b32 s61, s61, 1                                     // 00000000694C: 8E3D813D
	s_and_b32 s60, 0xfffeffff, s60                             // 000000006950: 863C3CFF FFFEFFFF
	s_and_b32 s61, 0xfffeffff, s61                             // 000000006958: 863D3DFF FFFEFFFF
	v_cndmask_b32_e64 v51, v51, v151, s[60:61]                 // 000000006960: D1000033 00F32F33
	s_branch label_0AFB                                        // 000000006968: BF820020

000000000000696c <label_0ADB>:
	v_mov_b32_e32 v48, v151                                    // 00000000696C: 7E600397
	v_mov_b32_e32 v49, v151                                    // 000000006970: 7E620397
	v_mov_b32_e32 v50, v151                                    // 000000006974: 7E640397
	v_mov_b32_e32 v51, v151                                    // 000000006978: 7E660397
	s_branch label_0AFB                                        // 00000000697C: BF82001B

0000000000006980 <label_0AE0>:
	v_cndmask_b32_e64 v52, v52, v151, s[60:61]                 // 000000006980: D1000034 00F32F34
	s_lshl_b32 s60, s60, 1                                     // 000000006988: 8E3C813C
	s_lshl_b32 s61, s61, 1                                     // 00000000698C: 8E3D813D
	s_and_b32 s60, 0xfffeffff, s60                             // 000000006990: 863C3CFF FFFEFFFF
	s_and_b32 s61, 0xfffeffff, s61                             // 000000006998: 863D3DFF FFFEFFFF
	v_cndmask_b32_e64 v53, v53, v151, s[60:61]                 // 0000000069A0: D1000035 00F32F35
	s_lshl_b32 s60, s60, 1                                     // 0000000069A8: 8E3C813C
	s_lshl_b32 s61, s61, 1                                     // 0000000069AC: 8E3D813D
	s_and_b32 s60, 0xfffeffff, s60                             // 0000000069B0: 863C3CFF FFFEFFFF
	s_and_b32 s61, 0xfffeffff, s61                             // 0000000069B8: 863D3DFF FFFEFFFF
	v_cndmask_b32_e64 v54, v54, v151, s[60:61]                 // 0000000069C0: D1000036 00F32F36
	s_lshl_b32 s60, s60, 1                                     // 0000000069C8: 8E3C813C
	s_lshl_b32 s61, s61, 1                                     // 0000000069CC: 8E3D813D
	s_and_b32 s60, 0xfffeffff, s60                             // 0000000069D0: 863C3CFF FFFEFFFF
	s_and_b32 s61, 0xfffeffff, s61                             // 0000000069D8: 863D3DFF FFFEFFFF
	v_cndmask_b32_e64 v55, v55, v151, s[60:61]                 // 0000000069E0: D1000037 00F32F37
	s_branch label_0B1B                                        // 0000000069E8: BF820020

00000000000069ec <label_0AFB>:
	v_mov_b32_e32 v52, v151                                    // 0000000069EC: 7E680397
	v_mov_b32_e32 v53, v151                                    // 0000000069F0: 7E6A0397
	v_mov_b32_e32 v54, v151                                    // 0000000069F4: 7E6C0397
	v_mov_b32_e32 v55, v151                                    // 0000000069F8: 7E6E0397
	s_branch label_0B1B                                        // 0000000069FC: BF82001B

0000000000006a00 <label_0B00>:
	v_cndmask_b32_e64 v56, v56, v151, s[60:61]                 // 000000006A00: D1000038 00F32F38
	s_lshl_b32 s60, s60, 1                                     // 000000006A08: 8E3C813C
	s_lshl_b32 s61, s61, 1                                     // 000000006A0C: 8E3D813D
	s_and_b32 s60, 0xfffeffff, s60                             // 000000006A10: 863C3CFF FFFEFFFF
	s_and_b32 s61, 0xfffeffff, s61                             // 000000006A18: 863D3DFF FFFEFFFF
	v_cndmask_b32_e64 v57, v57, v151, s[60:61]                 // 000000006A20: D1000039 00F32F39
	s_lshl_b32 s60, s60, 1                                     // 000000006A28: 8E3C813C
	s_lshl_b32 s61, s61, 1                                     // 000000006A2C: 8E3D813D
	s_and_b32 s60, 0xfffeffff, s60                             // 000000006A30: 863C3CFF FFFEFFFF
	s_and_b32 s61, 0xfffeffff, s61                             // 000000006A38: 863D3DFF FFFEFFFF
	v_cndmask_b32_e64 v58, v58, v151, s[60:61]                 // 000000006A40: D100003A 00F32F3A
	s_lshl_b32 s60, s60, 1                                     // 000000006A48: 8E3C813C
	s_lshl_b32 s61, s61, 1                                     // 000000006A4C: 8E3D813D
	s_and_b32 s60, 0xfffeffff, s60                             // 000000006A50: 863C3CFF FFFEFFFF
	s_and_b32 s61, 0xfffeffff, s61                             // 000000006A58: 863D3DFF FFFEFFFF
	v_cndmask_b32_e64 v59, v59, v151, s[60:61]                 // 000000006A60: D100003B 00F32F3B
	s_branch label_0B20                                        // 000000006A68: BF820005

0000000000006a6c <label_0B1B>:
	v_mov_b32_e32 v56, v151                                    // 000000006A6C: 7E700397
	v_mov_b32_e32 v57, v151                                    // 000000006A70: 7E720397
	v_mov_b32_e32 v58, v151                                    // 000000006A74: 7E740397
	v_mov_b32_e32 v59, v151                                    // 000000006A78: 7E760397
	s_branch label_0B20                                        // 000000006A7C: BF820000

0000000000006a80 <label_0B20>:
	s_addk_i32 s74, 0x1                                        // 000000006A80: B74A0001
	s_waitcnt lgkmcnt(8)                                       // 000000006A84: BF8CC87F
	s_barrier                                                  // 000000006A88: BF8A0000
	v_mfma_f32_16x16x16_bf16 v[72:75], v[92:93], a[96:97], 0   // 000000006A8C: D3E10048 1202C15C
	ds_read_b128 a[144:147], v14 offset:4352                   // 000000006A94: DBFE1100 9000000E
	ds_read_b128 a[148:151], v14 offset:4864                   // 000000006A9C: DBFE1300 9400000E
	v_mfma_f32_16x16x16_bf16 v[72:75], v[94:95], a[98:99], v[72:75]// 000000006AA4: D3E10048 1522C55E
	v_fma_f32 v48, v48, s57, -v124                             // 000000006AAC: D1CB0030 85F07330
	v_fma_f32 v49, v49, s57, -v125                             // 000000006AB4: D1CB0031 85F47331
	v_fma_f32 v50, v50, s57, -v126                             // 000000006ABC: D1CB0032 85F87332
	v_mfma_f32_16x16x16_bf16 v[72:75], v[96:97], a[100:101], v[72:75]// 000000006AC4: D3E10048 1522C960
	v_fma_f32 v51, v51, s57, -v127                             // 000000006ACC: D1CB0033 85FC7333
	v_fma_f32 v52, v52, s57, -v124                             // 000000006AD4: D1CB0034 85F07334
	v_fma_f32 v53, v53, s57, -v125                             // 000000006ADC: D1CB0035 85F47335
	v_mfma_f32_16x16x16_bf16 v[72:75], v[98:99], a[102:103], v[72:75]// 000000006AE4: D3E10048 1522CD62
	v_fma_f32 v54, v54, s57, -v126                             // 000000006AEC: D1CB0036 85F87336
	v_fma_f32 v55, v55, s57, -v127                             // 000000006AF4: D1CB0037 85FC7337
	v_fma_f32 v56, v56, s57, -v124                             // 000000006AFC: D1CB0038 85F07338
	v_mfma_f32_16x16x16_bf16 v[72:75], v[100:101], a[104:105], v[72:75]// 000000006B04: D3E10048 1522D164
	ds_read_b128 a[152:155], v14 offset:6528                   // 000000006B0C: DBFE1980 9800000E
	ds_read_b128 a[156:159], v14 offset:7040                   // 000000006B14: DBFE1B80 9C00000E
	v_mfma_f32_16x16x16_bf16 v[72:75], v[102:103], a[106:107], v[72:75]// 000000006B1C: D3E10048 1522D566
	v_fma_f32 v57, v57, s57, -v125                             // 000000006B24: D1CB0039 85F47339
	v_fma_f32 v58, v58, s57, -v126                             // 000000006B2C: D1CB003A 85F8733A
	v_fma_f32 v59, v59, s57, -v127                             // 000000006B34: D1CB003B 85FC733B
	v_mfma_f32_16x16x16_bf16 v[72:75], v[104:105], a[108:109], v[72:75]// 000000006B3C: D3E10048 1522D968
	v_exp_f32_e32 v48, v48                                     // 000000006B44: 7E604130
	v_mfma_f32_16x16x16_bf16 v[72:75], v[106:107], a[110:111], v[72:75]// 000000006B48: D3E10048 1522DD6A
	v_exp_f32_e32 v49, v49                                     // 000000006B50: 7E624131
	v_mfma_f32_16x16x16_bf16 v[76:79], v[92:93], a[112:113], 0 // 000000006B54: D3E1004C 1202E15C
	ds_read_b32 v136, v21 offset:24320                         // 000000006B5C: D86C5F00 88000015
	ds_read_b32 v137, v21 offset:24336                         // 000000006B64: D86C5F10 89000015
	v_mfma_f32_16x16x16_bf16 v[76:79], v[94:95], a[114:115], v[76:79]// 000000006B6C: D3E1004C 1532E55E
	v_exp_f32_e32 v50, v50                                     // 000000006B74: 7E644132
	v_mfma_f32_16x16x16_bf16 v[76:79], v[96:97], a[116:117], v[76:79]// 000000006B78: D3E1004C 1532E960
	ds_read_b32 v138, v21 offset:26496                         // 000000006B80: D86C6780 8A000015
	ds_read_b32 v139, v21 offset:26512                         // 000000006B88: D86C6790 8B000015
	v_mfma_f32_16x16x16_bf16 v[76:79], v[98:99], a[118:119], v[76:79]// 000000006B90: D3E1004C 1532ED62
	v_exp_f32_e32 v51, v51                                     // 000000006B98: 7E664133
	v_mfma_f32_16x16x16_bf16 v[76:79], v[100:101], a[120:121], v[76:79]// 000000006B9C: D3E1004C 1532F164
	v_exp_f32_e32 v52, v52                                     // 000000006BA4: 7E684134
	v_mfma_f32_16x16x16_bf16 v[76:79], v[102:103], a[122:123], v[76:79]// 000000006BA8: D3E1004C 1532F566
	v_exp_f32_e32 v53, v53                                     // 000000006BB0: 7E6A4135
	v_mfma_f32_16x16x16_bf16 v[76:79], v[104:105], a[124:125], v[76:79]// 000000006BB4: D3E1004C 1532F968
	v_exp_f32_e32 v54, v54                                     // 000000006BBC: 7E6C4136
	v_mfma_f32_16x16x16_bf16 v[76:79], v[106:107], a[126:127], v[76:79]// 000000006BC0: D3E1004C 1532FD6A
	v_exp_f32_e32 v55, v55                                     // 000000006BC8: 7E6E4137
	v_mfma_f32_16x16x16_bf16 v[80:83], v[92:93], a[128:129], 0 // 000000006BCC: D3E10050 1203015C
	v_exp_f32_e32 v56, v56                                     // 000000006BD4: 7E704138
	v_mfma_f32_16x16x16_bf16 v[80:83], v[94:95], a[130:131], v[80:83]// 000000006BD8: D3E10050 1543055E
	v_exp_f32_e32 v57, v57                                     // 000000006BE0: 7E724139
	v_mfma_f32_16x16x16_bf16 v[80:83], v[96:97], a[132:133], v[80:83]// 000000006BE4: D3E10050 15430960
	v_exp_f32_e32 v58, v58                                     // 000000006BEC: 7E74413A
	v_mfma_f32_16x16x16_bf16 v[80:83], v[98:99], a[134:135], v[80:83]// 000000006BF0: D3E10050 15430D62
	v_exp_f32_e32 v59, v59                                     // 000000006BF8: 7E76413B
	v_mfma_f32_16x16x16_bf16 v[80:83], v[100:101], a[136:137], v[80:83]// 000000006BFC: D3E10050 15431164
	v_perm_b32 v144, v49, v48, s64                             // 000000006C04: D1ED0090 01026131
	v_perm_b32 v145, v51, v50, s64                             // 000000006C0C: D1ED0091 01026533
	v_perm_b32 v146, v53, v52, s64                             // 000000006C14: D1ED0092 01026935
	v_mfma_f32_16x16x16_bf16 v[80:83], v[102:103], a[138:139], v[80:83]// 000000006C1C: D3E10050 15431566
	v_perm_b32 v147, v55, v54, s64                             // 000000006C24: D1ED0093 01026D37
	v_perm_b32 v148, v57, v56, s64                             // 000000006C2C: D1ED0094 01027139
	v_perm_b32 v149, v59, v58, s64                             // 000000006C34: D1ED0095 0102753B
	v_mfma_f32_16x16x16_bf16 v[80:83], v[104:105], a[140:141], v[80:83]// 000000006C3C: D3E10050 15431968
	s_add_u32 s32, s66, s32                                    // 000000006C44: 80202042
	s_addc_u32 s33, 0, s33                                     // 000000006C48: 82212180
	v_mfma_f32_16x16x16_bf16 v[80:83], v[106:107], a[142:143], v[80:83]// 000000006C4C: D3E10050 15431D6A
	s_waitcnt lgkmcnt(0)                                       // 000000006C54: BF8CC07F
	s_barrier                                                  // 000000006C58: BF8A0000
	v_mfma_f32_16x16x16_bf16 v[152:155], v[108:109], v[144:145], v[152:155]// 000000006C5C: D3E10098 0663216C
	v_subrev_f32_dpp v72, v150, v72 quad_perm:[0,0,0,0] row_mask:0xf bank_mask:0xf// 000000006C64: 069090FA FF000096
	v_subrev_f32_dpp v73, v150, v73 quad_perm:[1,1,1,1] row_mask:0xf bank_mask:0xf// 000000006C6C: 069292FA FF005596
	v_subrev_f32_dpp v74, v150, v74 quad_perm:[2,2,2,2] row_mask:0xf bank_mask:0xf// 000000006C74: 069494FA FF00AA96
	v_mfma_f32_16x16x16_bf16 v[156:159], v[110:111], v[144:145], v[156:159]// 000000006C7C: D3E1009C 0673216E
	v_subrev_f32_dpp v75, v150, v75 quad_perm:[3,3,3,3] row_mask:0xf bank_mask:0xf// 000000006C84: 069696FA FF00FF96
	v_subrev_f32_dpp v76, v150, v76 quad_perm:[0,0,0,0] row_mask:0xf bank_mask:0xf// 000000006C8C: 069898FA FF000096
	v_subrev_f32_dpp v77, v150, v77 quad_perm:[1,1,1,1] row_mask:0xf bank_mask:0xf// 000000006C94: 069A9AFA FF005596
	v_mfma_f32_16x16x16_bf16 v[160:163], v[112:113], v[144:145], v[160:163]// 000000006C9C: D3E100A0 06832170
	v_mul_f32_e32 v72, v48, v72                                // 000000006CA4: 0A909130
	v_mul_f32_e32 v73, v49, v73                                // 000000006CA8: 0A929331
	v_mul_f32_e32 v74, v50, v74                                // 000000006CAC: 0A949532
	v_mfma_f32_16x16x16_bf16 v[164:167], v[114:115], v[144:145], v[164:167]// 000000006CB0: D3E100A4 06932172
	v_mul_f32_e32 v75, v51, v75                                // 000000006CB8: 0A969733
	v_mul_f32_e32 v76, v52, v76                                // 000000006CBC: 0A989934
	v_mul_f32_e32 v77, v53, v77                                // 000000006CC0: 0A9A9B35
	v_mfma_f32_16x16x16_bf16 v[168:171], v[116:117], v[144:145], v[168:171]// 000000006CC4: D3E100A8 06A32174
	v_perm_b32 v72, v73, v72, s64                              // 000000006CCC: D1ED0048 01029149
	v_perm_b32 v73, v75, v74, s64                              // 000000006CD4: D1ED0049 0102954B
	v_perm_b32 v74, v77, v76, s64                              // 000000006CDC: D1ED004A 0102994D
	v_mfma_f32_16x16x16_bf16 v[172:175], v[118:119], v[144:145], v[172:175]// 000000006CE4: D3E100AC 06B32176
	v_mov_b32_dpp v18, v72 quad_perm:[1,0,3,2] row_mask:0xf bank_mask:0xf// 000000006CEC: 7E2402FA FF00B148
	v_perm_b32 v48, v18, v72, v17                              // 000000006CF4: D1ED0030 04469112
	v_mov_b32_dpp v18, v73 quad_perm:[1,0,3,2] row_mask:0xf bank_mask:0xf// 000000006CFC: 7E2402FA FF00B149
	v_mfma_f32_16x16x16_bf16 v[176:179], v[120:121], v[144:145], v[176:179]// 000000006D04: D3E100B0 06C32178
	v_perm_b32 v49, v18, v73, v17                              // 000000006D0C: D1ED0031 04469312
	v_mov_b32_dpp v18, v74 quad_perm:[1,0,3,2] row_mask:0xf bank_mask:0xf// 000000006D14: 7E2402FA FF00B14A
	v_perm_b32 v50, v18, v74, v17                              // 000000006D1C: D1ED0032 04469512
	v_mfma_f32_16x16x16_bf16 v[180:183], v[122:123], v[144:145], v[180:183]// 000000006D24: D3E100B4 06D3217A
	ds_write_b32 v20, v48 offset:17408                         // 000000006D2C: D81A4400 00003014
	v_mfma_f32_16x16x16_bf16 v[184:187], v[108:109], v[146:147], v[184:187]// 000000006D34: D3E100B8 06E3256C
	v_subrev_f32_dpp v78, v150, v78 quad_perm:[2,2,2,2] row_mask:0xf bank_mask:0xf// 000000006D3C: 069C9CFA FF00AA96
	v_subrev_f32_dpp v79, v150, v79 quad_perm:[3,3,3,3] row_mask:0xf bank_mask:0xf// 000000006D44: 069E9EFA FF00FF96
	v_subrev_f32_dpp v80, v150, v80 quad_perm:[0,0,0,0] row_mask:0xf bank_mask:0xf// 000000006D4C: 06A0A0FA FF000096
	v_mfma_f32_16x16x16_bf16 v[188:191], v[110:111], v[146:147], v[188:191]// 000000006D54: D3E100BC 06F3256E
	ds_write_b32 v20, v49 offset:17952                         // 000000006D5C: D81A4620 00003114
	v_mfma_f32_16x16x16_bf16 v[192:195], v[112:113], v[146:147], v[192:195]// 000000006D64: D3E100C0 07032570
	v_subrev_f32_dpp v81, v150, v81 quad_perm:[1,1,1,1] row_mask:0xf bank_mask:0xf// 000000006D6C: 06A2A2FA FF005596
	v_subrev_f32_dpp v82, v150, v82 quad_perm:[2,2,2,2] row_mask:0xf bank_mask:0xf// 000000006D74: 06A4A4FA FF00AA96
	v_subrev_f32_dpp v83, v150, v83 quad_perm:[3,3,3,3] row_mask:0xf bank_mask:0xf// 000000006D7C: 06A6A6FA FF00FF96
	v_mfma_f32_16x16x16_bf16 v[196:199], v[114:115], v[146:147], v[196:199]// 000000006D84: D3E100C4 07132572
	ds_write_b32 v20, v50 offset:19712                         // 000000006D8C: D81A4D00 00003214
	v_mfma_f32_16x16x16_bf16 v[200:203], v[116:117], v[146:147], v[200:203]// 000000006D94: D3E100C8 07232574
	v_mul_f32_e32 v78, v54, v78                                // 000000006D9C: 0A9C9D36
	v_mul_f32_e32 v79, v55, v79                                // 000000006DA0: 0A9E9F37
	v_mul_f32_e32 v80, v56, v80                                // 000000006DA4: 0AA0A138
	v_mfma_f32_16x16x16_bf16 v[204:207], v[118:119], v[146:147], v[204:207]// 000000006DA8: D3E100CC 07332576
	v_mul_f32_e32 v81, v57, v81                                // 000000006DB0: 0AA2A339
	v_mul_f32_e32 v82, v58, v82                                // 000000006DB4: 0AA4A53A
	v_mul_f32_e32 v83, v59, v83                                // 000000006DB8: 0AA6A73B
	v_mfma_f32_16x16x16_bf16 v[208:211], v[120:121], v[146:147], v[208:211]// 000000006DBC: D3E100D0 07432578
	v_perm_b32 v75, v79, v78, s64                              // 000000006DC4: D1ED004B 01029D4F
	v_perm_b32 v76, v81, v80, s64                              // 000000006DCC: D1ED004C 0102A151
	v_perm_b32 v77, v83, v82, s64                              // 000000006DD4: D1ED004D 0102A553
	v_mfma_f32_16x16x16_bf16 v[212:215], v[122:123], v[146:147], v[212:215]// 000000006DDC: D3E100D4 0753257A
	v_mov_b32_dpp v18, v75 quad_perm:[1,0,3,2] row_mask:0xf bank_mask:0xf// 000000006DE4: 7E2402FA FF00B14B
	v_perm_b32 v51, v18, v75, v17                              // 000000006DEC: D1ED0033 04469712
	v_mov_b32_dpp v18, v76 quad_perm:[1,0,3,2] row_mask:0xf bank_mask:0xf// 000000006DF4: 7E2402FA FF00B14C
	v_mfma_f32_16x16x16_bf16 v[216:219], v[108:109], v[148:149], v[216:219]// 000000006DFC: D3E100D8 0763296C
	v_perm_b32 v52, v18, v76, v17                              // 000000006E04: D1ED0034 04469912
	v_mov_b32_dpp v18, v77 quad_perm:[1,0,3,2] row_mask:0xf bank_mask:0xf// 000000006E0C: 7E2402FA FF00B14D
	v_perm_b32 v53, v18, v77, v17                              // 000000006E14: D1ED0035 04469B12
	v_mfma_f32_16x16x16_bf16 v[220:223], v[110:111], v[148:149], v[220:223]// 000000006E1C: D3E100DC 0773296E
	ds_write_b32 v20, v51 offset:20256                         // 000000006E24: D81A4F20 00003314
	v_mfma_f32_16x16x16_bf16 v[224:227], v[112:113], v[148:149], v[224:227]// 000000006E2C: D3E100E0 07832970
	v_mfma_f32_16x16x16_bf16 v[228:231], v[114:115], v[148:149], v[228:231]// 000000006E34: D3E100E4 07932972
	ds_write_b32 v20, v52 offset:22016                         // 000000006E3C: D81A5600 00003414
	ds_write_b32 v20, v53 offset:22560                         // 000000006E44: D81A5820 00003514
	v_mfma_f32_16x16x16_bf16 v[232:235], v[116:117], v[148:149], v[232:235]// 000000006E4C: D3E100E8 07A32974
	v_mfma_f32_16x16x16_bf16 v[236:239], v[118:119], v[148:149], v[236:239]// 000000006E54: D3E100EC 07B32976
	ds_write_b32 v15, v84 offset:4352                          // 000000006E5C: D81A1100 0000540F
	ds_write_b32 v15, v85 offset:5408                          // 000000006E64: D81A1520 0000550F
	v_mfma_f32_16x16x16_bf16 v[240:243], v[120:121], v[148:149], v[240:243]// 000000006E6C: D3E100F0 07C32978
	s_nop 0                                                    // 000000006E74: BF800000
	s_nop 0                                                    // 000000006E78: BF800000
	s_nop 0                                                    // 000000006E7C: BF800000
	v_mfma_f32_16x16x16_bf16 v[244:247], v[122:123], v[148:149], v[244:247]// 000000006E80: D3E100F4 07D3297A
	ds_write_b32 v15, v86 offset:4480                          // 000000006E88: D81A1180 0000560F
	ds_write_b32 v15, v87 offset:5536                          // 000000006E90: D81A15A0 0000570F
	s_barrier                                                  // 000000006E98: BF8A0000
	v_mfma_f32_16x16x16_bf16 a[160:163], a[144:145], v[72:73], a[160:163]// 000000006E9C: D3E180A0 0E829190
	global_atomic_pk_add_bf16 v6, v136, s[32:33]               // 000000006EA4: DD488000 00208806
	v_mfma_f32_16x16x16_bf16 a[164:167], a[146:147], v[72:73], a[164:167]// 000000006EAC: D3E180A4 0E929192
	ds_read_b32 v124, v23 offset:50688                         // 000000006EB4: D86CC600 7C000017
	ds_read_b32 v150, v23 offset:50944                         // 000000006EBC: D86CC700 96000017
	v_mfma_f32_16x16x16_bf16 a[168:171], a[148:149], v[72:73], a[168:171]// 000000006EC4: D3E180A8 0EA29194
	s_waitcnt lgkmcnt(6)                                       // 000000006ECC: BF8CC67F
	s_barrier                                                  // 000000006ED0: BF8A0000
	v_mfma_f32_16x16x16_bf16 a[172:175], a[150:151], v[72:73], a[172:175]// 000000006ED4: D3E180AC 0EB29196
	ds_read_b128 v[48:51], v19 offset:17408                    // 000000006EDC: D9FE4400 30000013
	v_mfma_f32_16x16x16_bf16 a[176:179], a[152:153], v[72:73], a[176:179]// 000000006EE4: D3E180B0 0EC29198
	v_mfma_f32_16x16x16_bf16 a[180:183], a[154:155], v[72:73], a[180:183]// 000000006EEC: D3E180B4 0ED2919A
	ds_read_b128 v[52:55], v19 offset:18560                    // 000000006EF4: D9FE4880 34000013
	v_mfma_f32_16x16x16_bf16 a[184:187], a[156:157], v[72:73], a[184:187]// 000000006EFC: D3E180B8 0EE2919C
	global_atomic_pk_add_bf16 v8, v137, s[32:33]               // 000000006F04: DD488000 00208908
	v_mfma_f32_16x16x16_bf16 a[188:191], a[158:159], v[72:73], a[188:191]// 000000006F0C: D3E180BC 0EF2919E
	ds_read_b128 v[56:59], v19 offset:19712                    // 000000006F14: D9FE4D00 38000013
	v_mfma_f32_16x16x16_bf16 a[192:195], a[144:145], v[74:75], a[192:195]// 000000006F1C: D3E180C0 0F029590
	v_mfma_f32_16x16x16_bf16 a[196:199], a[146:147], v[74:75], a[196:199]// 000000006F24: D3E180C4 0F129592
	ds_read_b128 v[60:63], v19 offset:20864                    // 000000006F2C: D9FE5180 3C000013
	v_mfma_f32_16x16x16_bf16 a[200:203], a[148:149], v[74:75], a[200:203]// 000000006F34: D3E180C8 0F229594
	v_mfma_f32_16x16x16_bf16 a[204:207], a[150:151], v[74:75], a[204:207]// 000000006F3C: D3E180CC 0F329596
	ds_read_b128 v[64:67], v19 offset:22016                    // 000000006F44: D9FE5600 40000013
	v_mfma_f32_16x16x16_bf16 a[208:211], a[152:153], v[74:75], a[208:211]// 000000006F4C: D3E180D0 0F429598
	global_atomic_pk_add_bf16 v6, v138, s[32:33] offset:128    // 000000006F54: DD488080 00208A06
	v_mfma_f32_16x16x16_bf16 a[212:215], a[154:155], v[74:75], a[212:215]// 000000006F5C: D3E180D4 0F52959A
	ds_read_b128 v[68:71], v19 offset:23168                    // 000000006F64: D9FE5A80 44000013
	v_mfma_f32_16x16x16_bf16 a[216:219], a[156:157], v[74:75], a[216:219]// 000000006F6C: D3E180D8 0F62959C
	v_mfma_f32_16x16x16_bf16 a[220:223], a[158:159], v[74:75], a[220:223]// 000000006F74: D3E180DC 0F72959E
	ds_write_b32 v15, v88 offset:13056                         // 000000006F7C: D81A3300 0000580F
	v_mfma_f32_16x16x16_bf16 a[224:227], a[144:145], v[76:77], a[224:227]// 000000006F84: D3E180E0 0F829990
	v_mfma_f32_16x16x16_bf16 a[228:231], a[146:147], v[76:77], a[228:231]// 000000006F8C: D3E180E4 0F929992
	ds_write_b32 v15, v89 offset:14112                         // 000000006F94: D81A3720 0000590F
	v_mfma_f32_16x16x16_bf16 a[232:235], a[148:149], v[76:77], a[232:235]// 000000006F9C: D3E180E8 0FA29994
	global_atomic_pk_add_bf16 v8, v139, s[32:33] offset:128    // 000000006FA4: DD488080 00208B08
	v_mfma_f32_16x16x16_bf16 a[236:239], a[150:151], v[76:77], a[236:239]// 000000006FAC: D3E180EC 0FB29996
	ds_write_b32 v15, v90 offset:13184                         // 000000006FB4: D81A3380 00005A0F
	v_mfma_f32_16x16x16_bf16 a[240:243], a[152:153], v[76:77], a[240:243]// 000000006FBC: D3E180F0 0FC29998
	v_mfma_f32_16x16x16_bf16 a[244:247], a[154:155], v[76:77], a[244:247]// 000000006FC4: D3E180F4 0FD2999A
	ds_write_b32 v15, v91 offset:14240                         // 000000006FCC: D81A37A0 00005B0F
	v_mfma_f32_16x16x16_bf16 a[248:251], a[156:157], v[76:77], a[248:251]// 000000006FD4: D3E180F8 0FE2999C
	v_mfma_f32_16x16x16_bf16 a[252:255], a[158:159], v[76:77], a[252:255]// 000000006FDC: D3E180FC 0FF2999E
	s_waitcnt vmcnt(4) lgkmcnt(4)                              // 000000006FE4: BF8C0474
	s_barrier                                                  // 000000006FE8: BF8A0000
	v_mfma_f32_16x16x16_bf16 v[128:131], a[48:49], v[48:49], 0 // 000000006FEC: D3E10080 0A026130
	v_mul_f32_e32 v124, s49, v124                              // 000000006FF4: 0AF8F831
	s_nop 0                                                    // 000000006FF8: BF800000
	v_mfma_f32_16x16x16_bf16 v[128:131], a[52:53], v[50:51], v[128:131]// 000000006FFC: D3E10080 0E026534
	ds_read_b128 a[144:147], v12                               // 000000007004: DBFE0000 9000000C
	buffer_load_dword v32, v1, s[8:11], 0 idxen                // 00000000700C: E0502000 80022001
	v_mfma_f32_16x16x16_bf16 v[128:131], a[56:57], v[52:53], v[128:131]// 000000007014: D3E10080 0E026938
	v_mfma_f32_16x16x16_bf16 v[128:131], a[60:61], v[54:55], v[128:131]// 00000000701C: D3E10080 0E026D3C
	ds_read_b128 a[148:151], v12 offset:512                    // 000000007024: DBFE0200 9400000C
	buffer_load_dword v33, v2, s[8:11], 0 idxen                // 00000000702C: E0502000 80022102
	v_mfma_f32_16x16x16_bf16 v[128:131], a[64:65], v[56:57], v[128:131]// 000000007034: D3E10080 0E027140
	v_perm_b32 v84, v37, v36, s63                              // 00000000703C: D1ED0054 00FE4925
	v_perm_b32 v85, v37, v36, s64                              // 000000007044: D1ED0055 01024925
	v_mfma_f32_16x16x16_bf16 v[128:131], a[68:69], v[58:59], v[128:131]// 00000000704C: D3E10080 0E027544
	ds_read_b128 a[152:155], v12 offset:2176                   // 000000007054: DBFE0880 9800000C
	buffer_load_dword v34, v3, s[8:11], 0 idxen                // 00000000705C: E0502000 80022203
	v_mfma_f32_16x16x16_bf16 v[128:131], a[72:73], v[60:61], v[128:131]// 000000007064: D3E10080 0E027948
	v_perm_b32 v86, v39, v38, s63                              // 00000000706C: D1ED0056 00FE4D27
	v_perm_b32 v87, v39, v38, s64                              // 000000007074: D1ED0057 01024D27
	v_mfma_f32_16x16x16_bf16 v[128:131], a[76:77], v[62:63], v[128:131]// 00000000707C: D3E10080 0E027D4C
	ds_read_b128 a[156:159], v12 offset:2688                   // 000000007084: DBFE0A80 9C00000C
	buffer_load_dword v35, v4, s[8:11], 0 idxen                // 00000000708C: E0502000 80022304
	v_mfma_f32_16x16x16_bf16 v[128:131], a[80:81], v[64:65], v[128:131]// 000000007094: D3E10080 0E028150
	v_perm_b32 v88, v45, v44, s63                              // 00000000709C: D1ED0058 00FE592D
	v_perm_b32 v89, v45, v44, s64                              // 0000000070A4: D1ED0059 0102592D
	v_mfma_f32_16x16x16_bf16 v[128:131], a[84:85], v[66:67], v[128:131]// 0000000070AC: D3E10080 0E028554
	ds_read_b128 v[92:95], v12 offset:8704                     // 0000000070B4: D9FE2200 5C00000C
	buffer_load_dword v40, v1, s[20:23], 0 idxen               // 0000000070BC: E0502000 80052801
	v_mfma_f32_16x16x16_bf16 v[128:131], a[88:89], v[68:69], v[128:131]// 0000000070C4: D3E10080 0E028958
	v_perm_b32 v90, v47, v46, s63                              // 0000000070CC: D1ED005A 00FE5D2F
	v_perm_b32 v91, v47, v46, s64                              // 0000000070D4: D1ED005B 01025D2F
	v_mfma_f32_16x16x16_bf16 v[128:131], a[92:93], v[70:71], v[128:131]// 0000000070DC: D3E10080 0E028D5C
	ds_read_b128 v[96:99], v12 offset:9216                     // 0000000070E4: D9FE2400 6000000C
	buffer_load_dword v41, v2, s[20:23], 0 idxen               // 0000000070EC: E0502000 80052902
	v_mfma_f32_16x16x16_bf16 v[132:135], a[50:51], v[48:49], 0 // 0000000070F4: D3E10084 0A026132
	v_mov_b32_dpp v127, v124 quad_perm:[3,3,3,3] row_mask:0xf bank_mask:0xf// 0000000070FC: 7EFE02FA FF00FF7C
	v_mov_b32_dpp v126, v124 quad_perm:[2,2,2,2] row_mask:0xf bank_mask:0xf// 000000007104: 7EFC02FA FF00AA7C
	v_mfma_f32_16x16x16_bf16 v[132:135], a[54:55], v[50:51], v[132:135]// 00000000710C: D3E10084 0E126536
	ds_read_b128 v[100:103], v12 offset:10880                  // 000000007114: D9FE2A80 6400000C
	buffer_load_dword v42, v3, s[20:23], 0 idxen               // 00000000711C: E0502000 80052A03
	v_mfma_f32_16x16x16_bf16 v[132:135], a[58:59], v[52:53], v[132:135]// 000000007124: D3E10084 0E12693A
	v_mov_b32_dpp v125, v124 quad_perm:[1,1,1,1] row_mask:0xf bank_mask:0xf// 00000000712C: 7EFA02FA FF00557C
	v_mov_b32_dpp v124, v124 quad_perm:[0,0,0,0] row_mask:0xf bank_mask:0xf// 000000007134: 7EF802FA FF00007C
	s_add_u32 s60, 64, s59                                     // 00000000713C: 803C3BC0
	v_mfma_f32_16x16x16_bf16 v[132:135], a[62:63], v[54:55], v[132:135]// 000000007140: D3E10084 0E126D3E
	ds_read_b128 v[104:107], v12 offset:11392                  // 000000007148: D9FE2C80 6800000C
	buffer_load_dword v43, v4, s[20:23], 0 idxen               // 000000007150: E0502000 80052B04
	v_mfma_f32_16x16x16_bf16 v[132:135], a[66:67], v[56:57], v[132:135]// 000000007158: D3E10084 0E127142
	s_cmp_lt_u32 s60, s58                                      // 000000007160: BF0A3A3C
	s_cselect_b32 s68, s68, 0                                  // 000000007164: 85448044
	s_cselect_b32 s69, s69, 0                                  // 000000007168: 85458045
	v_mfma_f32_16x16x16_bf16 v[132:135], a[70:71], v[58:59], v[132:135]// 00000000716C: D3E10084 0E127546
	buffer_load_dword v11, s[24:27], 0 idxen lds               // 000000007174: E0512000 8006000B
	v_mfma_f32_16x16x16_bf16 v[132:135], a[74:75], v[60:61], v[132:135]// 00000000717C: D3E10084 0E12794A
	s_add_u32 s8, s68, s8                                      // 000000007184: 80080844
	s_addc_u32 s9, 0, s9                                       // 000000007188: 82090980
	v_mfma_f32_16x16x16_bf16 v[132:135], a[78:79], v[62:63], v[132:135]// 00000000718C: D3E10084 0E127D4E
	s_add_u32 s20, s68, s20                                    // 000000007194: 80141444
	s_addc_u32 s21, 0, s21                                     // 000000007198: 82151580
	v_mfma_f32_16x16x16_bf16 v[132:135], a[82:83], v[64:65], v[132:135]// 00000000719C: D3E10084 0E128152
	s_mov_b32 m0, s81                                          // 0000000071A4: BEFC0051
	v_add_u32_e32 v11, s69, v11                                // 0000000071A8: 68161645
	v_mfma_f32_16x16x16_bf16 v[132:135], a[86:87], v[66:67], v[132:135]// 0000000071AC: D3E10084 0E128556
	s_cmp_ge_u32 s59, s73                                      // 0000000071B4: BF09493B
	s_cselect_b32 s66, s67, s66                                // 0000000071B8: 85424243
	v_mfma_f32_16x16x16_bf16 v[132:135], a[90:91], v[68:69], v[132:135]// 0000000071BC: D3E10084 0E12895A
	s_addk_i32 s59, 0x10                                       // 0000000071C4: B73B0010
	s_nop 0                                                    // 0000000071C8: BF800000
	s_cmp_lt_i32 s59, s58                                      // 0000000071CC: BF043A3B
	v_mfma_f32_16x16x16_bf16 v[132:135], a[94:95], v[70:71], v[132:135]// 0000000071D0: D3E10084 0E128D5E
	s_cbranch_scc0 label_0CF8                                  // 0000000071D8: BF840001
	s_branch label_079F                                        // 0000000071DC: BF82FAA7

00000000000071e0 <label_0CF8>:
	s_nop 0                                                    // 0000000071E0: BF800000
	s_nop 0                                                    // 0000000071E4: BF800000
	s_branch label_1254                                        // 0000000071E8: BF820559

00000000000071ec <label_0CFB>:
	s_waitcnt lgkmcnt(4)                                       // 0000000071EC: BF8CC47F
	s_barrier                                                  // 0000000071F0: BF8A0000
	v_mfma_f32_16x16x16_bf16 v[48:51], a[144:145], a[0:1], 0   // 0000000071F4: D3E10030 1A020190
	v_mul_f32_e32 v128, s48, v128                              // 0000000071FC: 0B010030
	v_mul_f32_e32 v129, s48, v129                              // 000000007200: 0B030230
	v_mfma_f32_16x16x16_bf16 v[48:51], a[146:147], a[2:3], v[48:51]// 000000007204: D3E10030 1CC20592
	ds_write_b32 v13, v44 offset:8704                          // 00000000720C: D81A2200 00002C0D
	ds_write_b32 v13, v45 offset:9760                          // 000000007214: D81A2620 00002D0D
	v_mfma_f32_16x16x16_bf16 v[48:51], a[148:149], a[4:5], v[48:51]// 00000000721C: D3E10030 1CC20994
	v_mul_f32_e32 v130, s48, v130                              // 000000007224: 0B050430
	v_mul_f32_e32 v131, s48, v131                              // 000000007228: 0B070630
	v_mfma_f32_16x16x16_bf16 v[48:51], a[150:151], a[6:7], v[48:51]// 00000000722C: D3E10030 1CC20D96
	ds_write_b32 v13, v46 offset:8832                          // 000000007234: D81A2280 00002E0D
	ds_write_b32 v13, v47 offset:9888                          // 00000000723C: D81A26A0 00002F0D
	v_mfma_f32_16x16x16_bf16 v[48:51], a[152:153], a[8:9], v[48:51]// 000000007244: D3E10030 1CC21198
	v_mul_f32_e32 v132, s48, v132                              // 00000000724C: 0B090830
	v_mul_f32_e32 v133, s48, v133                              // 000000007250: 0B0B0A30
	v_mfma_f32_16x16x16_bf16 v[48:51], a[154:155], a[10:11], v[48:51]// 000000007254: D3E10030 1CC2159A
	v_mul_f32_e32 v134, s48, v134                              // 00000000725C: 0B0D0C30
	v_mul_f32_e32 v135, s48, v135                              // 000000007260: 0B0F0E30
	v_mfma_f32_16x16x16_bf16 v[48:51], a[156:157], a[12:13], v[48:51]// 000000007264: D3E10030 1CC2199C
	v_perm_b32 v128, v129, v128, s64                           // 00000000726C: D1ED0080 01030181
	v_perm_b32 v129, v131, v130, s64                           // 000000007274: D1ED0081 01030583
	v_mfma_f32_16x16x16_bf16 v[48:51], a[158:159], a[14:15], v[48:51]// 00000000727C: D3E10030 1CC21D9E
	v_perm_b32 v130, v133, v132, s64                           // 000000007284: D1ED0082 01030985
	v_perm_b32 v131, v135, v134, s64                           // 00000000728C: D1ED0083 01030D87
	v_mfma_f32_16x16x16_bf16 v[52:55], a[144:145], a[16:17], 0 // 000000007294: D3E10034 1A022190
	v_mfma_f32_16x16x16_bf16 v[52:55], a[146:147], a[18:19], v[52:55]// 00000000729C: D3E10034 1CD22592
	ds_write_b64 v22, v[128:129] offset:24320                  // 0000000072A4: D89A5F00 00008016
	v_mfma_f32_16x16x16_bf16 v[52:55], a[148:149], a[20:21], v[52:55]// 0000000072AC: D3E10034 1CD22994
	v_mfma_f32_16x16x16_bf16 v[52:55], a[150:151], a[22:23], v[52:55]// 0000000072B4: D3E10034 1CD22D96
	ds_write_b64 v22, v[130:131] offset:24864                  // 0000000072BC: D89A6120 00008216
	v_mfma_f32_16x16x16_bf16 v[52:55], a[152:153], a[24:25], v[52:55]// 0000000072C4: D3E10034 1CD23198
	v_mfma_f32_16x16x16_bf16 v[52:55], a[154:155], a[26:27], v[52:55]// 0000000072CC: D3E10034 1CD2359A
	ds_read_b128 v[108:111], v14 offset:13056                  // 0000000072D4: D9FE3300 6C00000E
	ds_write_b32 v13, v36                                      // 0000000072DC: D81A0000 0000240D
	v_mfma_f32_16x16x16_bf16 v[52:55], a[156:157], a[28:29], v[52:55]// 0000000072E4: D3E10034 1CD2399C
	v_mfma_f32_16x16x16_bf16 v[52:55], a[158:159], a[30:31], v[52:55]// 0000000072EC: D3E10034 1CD23D9E
	v_mfma_f32_16x16x16_bf16 v[56:59], a[144:145], a[32:33], 0 // 0000000072F4: D3E10038 1A024190
	ds_read_b128 v[112:115], v14 offset:13568                  // 0000000072FC: D9FE3500 7000000E
	ds_write_b32 v13, v37 offset:1056                          // 000000007304: D81A0420 0000250D
	v_mfma_f32_16x16x16_bf16 v[56:59], a[146:147], a[34:35], v[56:59]// 00000000730C: D3E10038 1CE24592
	v_mfma_f32_16x16x16_bf16 v[56:59], a[148:149], a[36:37], v[56:59]// 000000007314: D3E10038 1CE24994
	v_mfma_f32_16x16x16_bf16 v[56:59], a[150:151], a[38:39], v[56:59]// 00000000731C: D3E10038 1CE24D96
	ds_read_b128 v[116:119], v14 offset:15232                  // 000000007324: D9FE3B80 7400000E
	ds_write_b32 v13, v38 offset:128                           // 00000000732C: D81A0080 0000260D
	v_mfma_f32_16x16x16_bf16 v[56:59], a[152:153], a[40:41], v[56:59]// 000000007334: D3E10038 1CE25198
	v_mfma_f32_16x16x16_bf16 v[56:59], a[154:155], a[42:43], v[56:59]// 00000000733C: D3E10038 1CE2559A
	v_mfma_f32_16x16x16_bf16 v[56:59], a[156:157], a[44:45], v[56:59]// 000000007344: D3E10038 1CE2599C
	ds_read_b128 v[120:123], v14 offset:15744                  // 00000000734C: D9FE3D80 7800000E
	ds_write_b32 v13, v39 offset:1184                          // 000000007354: D81A04A0 0000270D
	v_mfma_f32_16x16x16_bf16 v[56:59], a[158:159], a[46:47], v[56:59]// 00000000735C: D3E10038 1CE25D9E
	s_cmp_lt_i32 s74, 12                                       // 000000007364: BF048C4A
	s_cbranch_scc0 label_0DD0                                  // 000000007368: BF840075
	s_mov_b32 s60, 0xffe0fffe                                  // 00000000736C: BEBC00FF FFE0FFFE
	s_mov_b32 s61, 0xe000fe00                                  // 000000007374: BEBD00FF E000FE00
	s_nop 0                                                    // 00000000737C: BF800000
	s_add_u32 s62, 0, s47                                      // 000000007380: 803E2F80
	s_cmp_lt_i32 s74, s62                                      // 000000007384: BF043E4A
	s_cbranch_scc1 label_0D8B                                  // 000000007388: BF850028
	s_cmp_eq_i32 s74, s62                                      // 00000000738C: BF003E4A
	s_cbranch_scc1 label_0D70                                  // 000000007390: BF85000B
	s_add_u32 s62, 4, s47                                      // 000000007394: 803E2F84
	s_cmp_lt_i32 s74, s62                                      // 000000007398: BF043E4A
	s_cbranch_scc1 label_0DAB                                  // 00000000739C: BF850043
	s_cmp_eq_i32 s74, s62                                      // 0000000073A0: BF003E4A
	s_cbranch_scc1 label_0D90                                  // 0000000073A4: BF850026
	s_add_u32 s62, 8, s47                                      // 0000000073A8: 803E2F88
	s_cmp_lt_i32 s74, s62                                      // 0000000073AC: BF043E4A
	s_cbranch_scc1 label_0DCB                                  // 0000000073B0: BF85005E
	s_cmp_eq_i32 s74, s62                                      // 0000000073B4: BF003E4A
	s_cbranch_scc1 label_0DB0                                  // 0000000073B8: BF850041
	s_branch label_0DD0                                        // 0000000073BC: BF820060

00000000000073c0 <label_0D70>:
	v_cndmask_b32_e64 v48, v48, v151, s[60:61]                 // 0000000073C0: D1000030 00F32F30
	s_lshl_b32 s60, s60, 1                                     // 0000000073C8: 8E3C813C
	s_lshl_b32 s61, s61, 1                                     // 0000000073CC: 8E3D813D
	s_and_b32 s60, 0xfffeffff, s60                             // 0000000073D0: 863C3CFF FFFEFFFF
	s_and_b32 s61, 0xfffeffff, s61                             // 0000000073D8: 863D3DFF FFFEFFFF
	v_cndmask_b32_e64 v49, v49, v151, s[60:61]                 // 0000000073E0: D1000031 00F32F31
	s_lshl_b32 s60, s60, 1                                     // 0000000073E8: 8E3C813C
	s_lshl_b32 s61, s61, 1                                     // 0000000073EC: 8E3D813D
	s_and_b32 s60, 0xfffeffff, s60                             // 0000000073F0: 863C3CFF FFFEFFFF
	s_and_b32 s61, 0xfffeffff, s61                             // 0000000073F8: 863D3DFF FFFEFFFF
	v_cndmask_b32_e64 v50, v50, v151, s[60:61]                 // 000000007400: D1000032 00F32F32
	s_lshl_b32 s60, s60, 1                                     // 000000007408: 8E3C813C
	s_lshl_b32 s61, s61, 1                                     // 00000000740C: 8E3D813D
	s_and_b32 s60, 0xfffeffff, s60                             // 000000007410: 863C3CFF FFFEFFFF
	s_and_b32 s61, 0xfffeffff, s61                             // 000000007418: 863D3DFF FFFEFFFF
	v_cndmask_b32_e64 v51, v51, v151, s[60:61]                 // 000000007420: D1000033 00F32F33
	s_branch label_0DAB                                        // 000000007428: BF820020

000000000000742c <label_0D8B>:
	v_mov_b32_e32 v48, v151                                    // 00000000742C: 7E600397
	v_mov_b32_e32 v49, v151                                    // 000000007430: 7E620397
	v_mov_b32_e32 v50, v151                                    // 000000007434: 7E640397
	v_mov_b32_e32 v51, v151                                    // 000000007438: 7E660397
	s_branch label_0DAB                                        // 00000000743C: BF82001B

0000000000007440 <label_0D90>:
	v_cndmask_b32_e64 v52, v52, v151, s[60:61]                 // 000000007440: D1000034 00F32F34
	s_lshl_b32 s60, s60, 1                                     // 000000007448: 8E3C813C
	s_lshl_b32 s61, s61, 1                                     // 00000000744C: 8E3D813D
	s_and_b32 s60, 0xfffeffff, s60                             // 000000007450: 863C3CFF FFFEFFFF
	s_and_b32 s61, 0xfffeffff, s61                             // 000000007458: 863D3DFF FFFEFFFF
	v_cndmask_b32_e64 v53, v53, v151, s[60:61]                 // 000000007460: D1000035 00F32F35
	s_lshl_b32 s60, s60, 1                                     // 000000007468: 8E3C813C
	s_lshl_b32 s61, s61, 1                                     // 00000000746C: 8E3D813D
	s_and_b32 s60, 0xfffeffff, s60                             // 000000007470: 863C3CFF FFFEFFFF
	s_and_b32 s61, 0xfffeffff, s61                             // 000000007478: 863D3DFF FFFEFFFF
	v_cndmask_b32_e64 v54, v54, v151, s[60:61]                 // 000000007480: D1000036 00F32F36
	s_lshl_b32 s60, s60, 1                                     // 000000007488: 8E3C813C
	s_lshl_b32 s61, s61, 1                                     // 00000000748C: 8E3D813D
	s_and_b32 s60, 0xfffeffff, s60                             // 000000007490: 863C3CFF FFFEFFFF
	s_and_b32 s61, 0xfffeffff, s61                             // 000000007498: 863D3DFF FFFEFFFF
	v_cndmask_b32_e64 v55, v55, v151, s[60:61]                 // 0000000074A0: D1000037 00F32F37
	s_branch label_0DCB                                        // 0000000074A8: BF820020

00000000000074ac <label_0DAB>:
	v_mov_b32_e32 v52, v151                                    // 0000000074AC: 7E680397
	v_mov_b32_e32 v53, v151                                    // 0000000074B0: 7E6A0397
	v_mov_b32_e32 v54, v151                                    // 0000000074B4: 7E6C0397
	v_mov_b32_e32 v55, v151                                    // 0000000074B8: 7E6E0397
	s_branch label_0DCB                                        // 0000000074BC: BF82001B

00000000000074c0 <label_0DB0>:
	v_cndmask_b32_e64 v56, v56, v151, s[60:61]                 // 0000000074C0: D1000038 00F32F38
	s_lshl_b32 s60, s60, 1                                     // 0000000074C8: 8E3C813C
	s_lshl_b32 s61, s61, 1                                     // 0000000074CC: 8E3D813D
	s_and_b32 s60, 0xfffeffff, s60                             // 0000000074D0: 863C3CFF FFFEFFFF
	s_and_b32 s61, 0xfffeffff, s61                             // 0000000074D8: 863D3DFF FFFEFFFF
	v_cndmask_b32_e64 v57, v57, v151, s[60:61]                 // 0000000074E0: D1000039 00F32F39
	s_lshl_b32 s60, s60, 1                                     // 0000000074E8: 8E3C813C
	s_lshl_b32 s61, s61, 1                                     // 0000000074EC: 8E3D813D
	s_and_b32 s60, 0xfffeffff, s60                             // 0000000074F0: 863C3CFF FFFEFFFF
	s_and_b32 s61, 0xfffeffff, s61                             // 0000000074F8: 863D3DFF FFFEFFFF
	v_cndmask_b32_e64 v58, v58, v151, s[60:61]                 // 000000007500: D100003A 00F32F3A
	s_lshl_b32 s60, s60, 1                                     // 000000007508: 8E3C813C
	s_lshl_b32 s61, s61, 1                                     // 00000000750C: 8E3D813D
	s_and_b32 s60, 0xfffeffff, s60                             // 000000007510: 863C3CFF FFFEFFFF
	s_and_b32 s61, 0xfffeffff, s61                             // 000000007518: 863D3DFF FFFEFFFF
	v_cndmask_b32_e64 v59, v59, v151, s[60:61]                 // 000000007520: D100003B 00F32F3B
	s_branch label_0DD0                                        // 000000007528: BF820005

000000000000752c <label_0DCB>:
	v_mov_b32_e32 v56, v151                                    // 00000000752C: 7E700397
	v_mov_b32_e32 v57, v151                                    // 000000007530: 7E720397
	v_mov_b32_e32 v58, v151                                    // 000000007534: 7E740397
	v_mov_b32_e32 v59, v151                                    // 000000007538: 7E760397
	s_branch label_0DD0                                        // 00000000753C: BF820000

0000000000007540 <label_0DD0>:
	s_addk_i32 s74, 0x1                                        // 000000007540: B74A0001
	s_waitcnt lgkmcnt(8)                                       // 000000007544: BF8CC87F
	s_barrier                                                  // 000000007548: BF8A0000
	v_mfma_f32_16x16x16_bf16 v[72:75], v[92:93], a[96:97], 0   // 00000000754C: D3E10048 1202C15C
	v_fma_f32 v48, v48, s57, -v124                             // 000000007554: D1CB0030 85F07330
	v_fma_f32 v49, v49, s57, -v125                             // 00000000755C: D1CB0031 85F47331
	v_fma_f32 v50, v50, s57, -v126                             // 000000007564: D1CB0032 85F87332
	v_mfma_f32_16x16x16_bf16 v[72:75], v[94:95], a[98:99], v[72:75]// 00000000756C: D3E10048 1522C55E
	ds_read_b128 a[144:147], v14 offset:4352                   // 000000007574: DBFE1100 9000000E
	ds_read_b128 a[148:151], v14 offset:4864                   // 00000000757C: DBFE1300 9400000E
	v_mfma_f32_16x16x16_bf16 v[72:75], v[96:97], a[100:101], v[72:75]// 000000007584: D3E10048 1522C960
	v_fma_f32 v51, v51, s57, -v127                             // 00000000758C: D1CB0033 85FC7333
	v_fma_f32 v52, v52, s57, -v124                             // 000000007594: D1CB0034 85F07334
	v_fma_f32 v53, v53, s57, -v125                             // 00000000759C: D1CB0035 85F47335
	v_mfma_f32_16x16x16_bf16 v[72:75], v[98:99], a[102:103], v[72:75]// 0000000075A4: D3E10048 1522CD62
	v_fma_f32 v54, v54, s57, -v126                             // 0000000075AC: D1CB0036 85F87336
	v_fma_f32 v55, v55, s57, -v127                             // 0000000075B4: D1CB0037 85FC7337
	v_fma_f32 v56, v56, s57, -v124                             // 0000000075BC: D1CB0038 85F07338
	v_mfma_f32_16x16x16_bf16 v[72:75], v[100:101], a[104:105], v[72:75]// 0000000075C4: D3E10048 1522D164
	v_fma_f32 v57, v57, s57, -v125                             // 0000000075CC: D1CB0039 85F47339
	v_fma_f32 v58, v58, s57, -v126                             // 0000000075D4: D1CB003A 85F8733A
	v_fma_f32 v59, v59, s57, -v127                             // 0000000075DC: D1CB003B 85FC733B
	v_mfma_f32_16x16x16_bf16 v[72:75], v[102:103], a[106:107], v[72:75]// 0000000075E4: D3E10048 1522D566
	ds_read_b128 a[152:155], v14 offset:6528                   // 0000000075EC: DBFE1980 9800000E
	ds_read_b128 a[156:159], v14 offset:7040                   // 0000000075F4: DBFE1B80 9C00000E
	v_mfma_f32_16x16x16_bf16 v[72:75], v[104:105], a[108:109], v[72:75]// 0000000075FC: D3E10048 1522D968
	v_exp_f32_e32 v48, v48                                     // 000000007604: 7E604130
	v_mfma_f32_16x16x16_bf16 v[72:75], v[106:107], a[110:111], v[72:75]// 000000007608: D3E10048 1522DD6A
	v_exp_f32_e32 v49, v49                                     // 000000007610: 7E624131
	v_mfma_f32_16x16x16_bf16 v[76:79], v[92:93], a[112:113], 0 // 000000007614: D3E1004C 1202E15C
	v_exp_f32_e32 v50, v50                                     // 00000000761C: 7E644132
	v_mfma_f32_16x16x16_bf16 v[76:79], v[94:95], a[114:115], v[76:79]// 000000007620: D3E1004C 1532E55E
	ds_read_b32 v136, v21 offset:24320                         // 000000007628: D86C5F00 88000015
	ds_read_b32 v137, v21 offset:24336                         // 000000007630: D86C5F10 89000015
	v_mfma_f32_16x16x16_bf16 v[76:79], v[96:97], a[116:117], v[76:79]// 000000007638: D3E1004C 1532E960
	v_exp_f32_e32 v51, v51                                     // 000000007640: 7E664133
	v_mfma_f32_16x16x16_bf16 v[76:79], v[98:99], a[118:119], v[76:79]// 000000007644: D3E1004C 1532ED62
	ds_read_b32 v138, v21 offset:26496                         // 00000000764C: D86C6780 8A000015
	ds_read_b32 v139, v21 offset:26512                         // 000000007654: D86C6790 8B000015
	v_mfma_f32_16x16x16_bf16 v[76:79], v[100:101], a[120:121], v[76:79]// 00000000765C: D3E1004C 1532F164
	v_exp_f32_e32 v52, v52                                     // 000000007664: 7E684134
	v_mfma_f32_16x16x16_bf16 v[76:79], v[102:103], a[122:123], v[76:79]// 000000007668: D3E1004C 1532F566
	v_exp_f32_e32 v53, v53                                     // 000000007670: 7E6A4135
	v_mfma_f32_16x16x16_bf16 v[76:79], v[104:105], a[124:125], v[76:79]// 000000007674: D3E1004C 1532F968
	v_exp_f32_e32 v54, v54                                     // 00000000767C: 7E6C4136
	v_mfma_f32_16x16x16_bf16 v[76:79], v[106:107], a[126:127], v[76:79]// 000000007680: D3E1004C 1532FD6A
	v_exp_f32_e32 v55, v55                                     // 000000007688: 7E6E4137
	v_mfma_f32_16x16x16_bf16 v[80:83], v[92:93], a[128:129], 0 // 00000000768C: D3E10050 1203015C
	v_exp_f32_e32 v56, v56                                     // 000000007694: 7E704138
	v_mfma_f32_16x16x16_bf16 v[80:83], v[94:95], a[130:131], v[80:83]// 000000007698: D3E10050 1543055E
	v_exp_f32_e32 v57, v57                                     // 0000000076A0: 7E724139
	v_mfma_f32_16x16x16_bf16 v[80:83], v[96:97], a[132:133], v[80:83]// 0000000076A4: D3E10050 15430960
	v_exp_f32_e32 v58, v58                                     // 0000000076AC: 7E74413A
	v_mfma_f32_16x16x16_bf16 v[80:83], v[98:99], a[134:135], v[80:83]// 0000000076B0: D3E10050 15430D62
	v_exp_f32_e32 v59, v59                                     // 0000000076B8: 7E76413B
	v_mfma_f32_16x16x16_bf16 v[80:83], v[100:101], a[136:137], v[80:83]// 0000000076BC: D3E10050 15431164
	v_perm_b32 v144, v49, v48, s64                             // 0000000076C4: D1ED0090 01026131
	v_perm_b32 v145, v51, v50, s64                             // 0000000076CC: D1ED0091 01026533
	v_perm_b32 v146, v53, v52, s64                             // 0000000076D4: D1ED0092 01026935
	v_mfma_f32_16x16x16_bf16 v[80:83], v[102:103], a[138:139], v[80:83]// 0000000076DC: D3E10050 15431566
	v_perm_b32 v147, v55, v54, s64                             // 0000000076E4: D1ED0093 01026D37
	v_perm_b32 v148, v57, v56, s64                             // 0000000076EC: D1ED0094 01027139
	v_perm_b32 v149, v59, v58, s64                             // 0000000076F4: D1ED0095 0102753B
	v_mfma_f32_16x16x16_bf16 v[80:83], v[104:105], a[140:141], v[80:83]// 0000000076FC: D3E10050 15431968
	s_add_u32 s32, s66, s32                                    // 000000007704: 80202042
	s_addc_u32 s33, 0, s33                                     // 000000007708: 82212180
	v_mfma_f32_16x16x16_bf16 v[80:83], v[106:107], a[142:143], v[80:83]// 00000000770C: D3E10050 15431D6A
	s_waitcnt lgkmcnt(0)                                       // 000000007714: BF8CC07F
	s_barrier                                                  // 000000007718: BF8A0000
	v_mfma_f32_16x16x16_bf16 v[152:155], v[108:109], v[144:145], v[152:155]// 00000000771C: D3E10098 0663216C
	v_subrev_f32_dpp v72, v150, v72 quad_perm:[0,0,0,0] row_mask:0xf bank_mask:0xf// 000000007724: 069090FA FF000096
	v_subrev_f32_dpp v73, v150, v73 quad_perm:[1,1,1,1] row_mask:0xf bank_mask:0xf// 00000000772C: 069292FA FF005596
	v_subrev_f32_dpp v74, v150, v74 quad_perm:[2,2,2,2] row_mask:0xf bank_mask:0xf// 000000007734: 069494FA FF00AA96
	v_mfma_f32_16x16x16_bf16 v[156:159], v[110:111], v[144:145], v[156:159]// 00000000773C: D3E1009C 0673216E
	v_subrev_f32_dpp v75, v150, v75 quad_perm:[3,3,3,3] row_mask:0xf bank_mask:0xf// 000000007744: 069696FA FF00FF96
	v_subrev_f32_dpp v76, v150, v76 quad_perm:[0,0,0,0] row_mask:0xf bank_mask:0xf// 00000000774C: 069898FA FF000096
	v_subrev_f32_dpp v77, v150, v77 quad_perm:[1,1,1,1] row_mask:0xf bank_mask:0xf// 000000007754: 069A9AFA FF005596
	v_mfma_f32_16x16x16_bf16 v[160:163], v[112:113], v[144:145], v[160:163]// 00000000775C: D3E100A0 06832170
	v_mul_f32_e32 v72, v48, v72                                // 000000007764: 0A909130
	v_mul_f32_e32 v73, v49, v73                                // 000000007768: 0A929331
	v_mul_f32_e32 v74, v50, v74                                // 00000000776C: 0A949532
	v_mfma_f32_16x16x16_bf16 v[164:167], v[114:115], v[144:145], v[164:167]// 000000007770: D3E100A4 06932172
	v_mul_f32_e32 v75, v51, v75                                // 000000007778: 0A969733
	v_mul_f32_e32 v76, v52, v76                                // 00000000777C: 0A989934
	v_mul_f32_e32 v77, v53, v77                                // 000000007780: 0A9A9B35
	v_mfma_f32_16x16x16_bf16 v[168:171], v[116:117], v[144:145], v[168:171]// 000000007784: D3E100A8 06A32174
	v_perm_b32 v72, v73, v72, s64                              // 00000000778C: D1ED0048 01029149
	v_perm_b32 v73, v75, v74, s64                              // 000000007794: D1ED0049 0102954B
	v_perm_b32 v74, v77, v76, s64                              // 00000000779C: D1ED004A 0102994D
	v_mfma_f32_16x16x16_bf16 v[172:175], v[118:119], v[144:145], v[172:175]// 0000000077A4: D3E100AC 06B32176
	v_mov_b32_dpp v18, v72 quad_perm:[1,0,3,2] row_mask:0xf bank_mask:0xf// 0000000077AC: 7E2402FA FF00B148
	v_perm_b32 v48, v18, v72, v17                              // 0000000077B4: D1ED0030 04469112
	v_mov_b32_dpp v18, v73 quad_perm:[1,0,3,2] row_mask:0xf bank_mask:0xf// 0000000077BC: 7E2402FA FF00B149
	v_mfma_f32_16x16x16_bf16 v[176:179], v[120:121], v[144:145], v[176:179]// 0000000077C4: D3E100B0 06C32178
	ds_write_b32 v20, v48 offset:17408                         // 0000000077CC: D81A4400 00003014
	v_mfma_f32_16x16x16_bf16 v[180:183], v[122:123], v[144:145], v[180:183]// 0000000077D4: D3E100B4 06D3217A
	v_perm_b32 v49, v18, v73, v17                              // 0000000077DC: D1ED0031 04469312
	v_mov_b32_dpp v18, v74 quad_perm:[1,0,3,2] row_mask:0xf bank_mask:0xf// 0000000077E4: 7E2402FA FF00B14A
	v_perm_b32 v50, v18, v74, v17                              // 0000000077EC: D1ED0032 04469512
	v_mfma_f32_16x16x16_bf16 v[184:187], v[108:109], v[146:147], v[184:187]// 0000000077F4: D3E100B8 06E3256C
	ds_write_b32 v20, v49 offset:17952                         // 0000000077FC: D81A4620 00003114
	v_mfma_f32_16x16x16_bf16 v[188:191], v[110:111], v[146:147], v[188:191]// 000000007804: D3E100BC 06F3256E
	v_subrev_f32_dpp v78, v150, v78 quad_perm:[2,2,2,2] row_mask:0xf bank_mask:0xf// 00000000780C: 069C9CFA FF00AA96
	v_subrev_f32_dpp v79, v150, v79 quad_perm:[3,3,3,3] row_mask:0xf bank_mask:0xf// 000000007814: 069E9EFA FF00FF96
	v_subrev_f32_dpp v80, v150, v80 quad_perm:[0,0,0,0] row_mask:0xf bank_mask:0xf// 00000000781C: 06A0A0FA FF000096
	v_mfma_f32_16x16x16_bf16 v[192:195], v[112:113], v[146:147], v[192:195]// 000000007824: D3E100C0 07032570
	ds_write_b32 v20, v50 offset:19712                         // 00000000782C: D81A4D00 00003214
	v_mfma_f32_16x16x16_bf16 v[196:199], v[114:115], v[146:147], v[196:199]// 000000007834: D3E100C4 07132572
	v_subrev_f32_dpp v81, v150, v81 quad_perm:[1,1,1,1] row_mask:0xf bank_mask:0xf// 00000000783C: 06A2A2FA FF005596
	v_subrev_f32_dpp v82, v150, v82 quad_perm:[2,2,2,2] row_mask:0xf bank_mask:0xf// 000000007844: 06A4A4FA FF00AA96
	v_subrev_f32_dpp v83, v150, v83 quad_perm:[3,3,3,3] row_mask:0xf bank_mask:0xf// 00000000784C: 06A6A6FA FF00FF96
	v_mfma_f32_16x16x16_bf16 v[200:203], v[116:117], v[146:147], v[200:203]// 000000007854: D3E100C8 07232574
	v_mul_f32_e32 v78, v54, v78                                // 00000000785C: 0A9C9D36
	v_mul_f32_e32 v79, v55, v79                                // 000000007860: 0A9E9F37
	v_mul_f32_e32 v80, v56, v80                                // 000000007864: 0AA0A138
	v_mfma_f32_16x16x16_bf16 v[204:207], v[118:119], v[146:147], v[204:207]// 000000007868: D3E100CC 07332576
	v_mul_f32_e32 v81, v57, v81                                // 000000007870: 0AA2A339
	v_mul_f32_e32 v82, v58, v82                                // 000000007874: 0AA4A53A
	v_mul_f32_e32 v83, v59, v83                                // 000000007878: 0AA6A73B
	v_mfma_f32_16x16x16_bf16 v[208:211], v[120:121], v[146:147], v[208:211]// 00000000787C: D3E100D0 07432578
	v_perm_b32 v75, v79, v78, s64                              // 000000007884: D1ED004B 01029D4F
	v_perm_b32 v76, v81, v80, s64                              // 00000000788C: D1ED004C 0102A151
	v_perm_b32 v77, v83, v82, s64                              // 000000007894: D1ED004D 0102A553
	v_mfma_f32_16x16x16_bf16 v[212:215], v[122:123], v[146:147], v[212:215]// 00000000789C: D3E100D4 0753257A
	v_mov_b32_dpp v18, v75 quad_perm:[1,0,3,2] row_mask:0xf bank_mask:0xf// 0000000078A4: 7E2402FA FF00B14B
	v_perm_b32 v51, v18, v75, v17                              // 0000000078AC: D1ED0033 04469712
	v_mov_b32_dpp v18, v76 quad_perm:[1,0,3,2] row_mask:0xf bank_mask:0xf// 0000000078B4: 7E2402FA FF00B14C
	v_mfma_f32_16x16x16_bf16 v[216:219], v[108:109], v[148:149], v[216:219]// 0000000078BC: D3E100D8 0763296C
	ds_write_b32 v20, v51 offset:20256                         // 0000000078C4: D81A4F20 00003314
	v_mfma_f32_16x16x16_bf16 v[220:223], v[110:111], v[148:149], v[220:223]// 0000000078CC: D3E100DC 0773296E
	v_perm_b32 v52, v18, v76, v17                              // 0000000078D4: D1ED0034 04469912
	v_mov_b32_dpp v18, v77 quad_perm:[1,0,3,2] row_mask:0xf bank_mask:0xf// 0000000078DC: 7E2402FA FF00B14D
	v_perm_b32 v53, v18, v77, v17                              // 0000000078E4: D1ED0035 04469B12
	v_mfma_f32_16x16x16_bf16 v[224:227], v[112:113], v[148:149], v[224:227]// 0000000078EC: D3E100E0 07832970
	ds_write_b32 v20, v52 offset:22016                         // 0000000078F4: D81A5600 00003414
	ds_write_b32 v20, v53 offset:22560                         // 0000000078FC: D81A5820 00003514
	v_mfma_f32_16x16x16_bf16 v[228:231], v[114:115], v[148:149], v[228:231]// 000000007904: D3E100E4 07932972
	v_mfma_f32_16x16x16_bf16 v[232:235], v[116:117], v[148:149], v[232:235]// 00000000790C: D3E100E8 07A32974
	ds_write_b32 v15, v84 offset:4352                          // 000000007914: D81A1100 0000540F
	ds_write_b32 v15, v85 offset:5408                          // 00000000791C: D81A1520 0000550F
	v_mfma_f32_16x16x16_bf16 v[236:239], v[118:119], v[148:149], v[236:239]// 000000007924: D3E100EC 07B32976
	v_mfma_f32_16x16x16_bf16 v[240:243], v[120:121], v[148:149], v[240:243]// 00000000792C: D3E100F0 07C32978
	ds_write_b32 v15, v86 offset:4480                          // 000000007934: D81A1180 0000560F
	ds_write_b32 v15, v87 offset:5536                          // 00000000793C: D81A15A0 0000570F
	v_mfma_f32_16x16x16_bf16 v[244:247], v[122:123], v[148:149], v[244:247]// 000000007944: D3E100F4 07D3297A
	s_nop 0                                                    // 00000000794C: BF800000
	s_nop 0                                                    // 000000007950: BF800000
	s_nop 0                                                    // 000000007954: BF800000
	s_barrier                                                  // 000000007958: BF8A0000
	v_mfma_f32_16x16x16_bf16 a[160:163], a[144:145], v[72:73], a[160:163]// 00000000795C: D3E180A0 0E829190
	ds_read_b32 v124, v23 offset:51200                         // 000000007964: D86CC800 7C000017
	ds_read_b32 v150, v23 offset:51456                         // 00000000796C: D86CC900 96000017
	v_mfma_f32_16x16x16_bf16 a[164:167], a[146:147], v[72:73], a[164:167]// 000000007974: D3E180A4 0E929192
	global_atomic_pk_add_bf16 v6, v136, s[32:33]               // 00000000797C: DD488000 00208806
	v_mfma_f32_16x16x16_bf16 a[168:171], a[148:149], v[72:73], a[168:171]// 000000007984: D3E180A8 0EA29194
	s_waitcnt lgkmcnt(6)                                       // 00000000798C: BF8CC67F
	s_barrier                                                  // 000000007990: BF8A0000
	v_mfma_f32_16x16x16_bf16 a[172:175], a[150:151], v[72:73], a[172:175]// 000000007994: D3E180AC 0EB29196
	v_mfma_f32_16x16x16_bf16 a[176:179], a[152:153], v[72:73], a[176:179]// 00000000799C: D3E180B0 0EC29198
	ds_read_b128 v[48:51], v19 offset:17408                    // 0000000079A4: D9FE4400 30000013
	v_mfma_f32_16x16x16_bf16 a[180:183], a[154:155], v[72:73], a[180:183]// 0000000079AC: D3E180B4 0ED2919A
	v_mfma_f32_16x16x16_bf16 a[184:187], a[156:157], v[72:73], a[184:187]// 0000000079B4: D3E180B8 0EE2919C
	ds_read_b128 v[52:55], v19 offset:18560                    // 0000000079BC: D9FE4880 34000013
	v_mfma_f32_16x16x16_bf16 a[188:191], a[158:159], v[72:73], a[188:191]// 0000000079C4: D3E180BC 0EF2919E
	global_atomic_pk_add_bf16 v8, v137, s[32:33]               // 0000000079CC: DD488000 00208908
	v_mfma_f32_16x16x16_bf16 a[192:195], a[144:145], v[74:75], a[192:195]// 0000000079D4: D3E180C0 0F029590
	ds_read_b128 v[56:59], v19 offset:19712                    // 0000000079DC: D9FE4D00 38000013
	v_mfma_f32_16x16x16_bf16 a[196:199], a[146:147], v[74:75], a[196:199]// 0000000079E4: D3E180C4 0F129592
	v_mfma_f32_16x16x16_bf16 a[200:203], a[148:149], v[74:75], a[200:203]// 0000000079EC: D3E180C8 0F229594
	ds_read_b128 v[60:63], v19 offset:20864                    // 0000000079F4: D9FE5180 3C000013
	v_mfma_f32_16x16x16_bf16 a[204:207], a[150:151], v[74:75], a[204:207]// 0000000079FC: D3E180CC 0F329596
	v_mfma_f32_16x16x16_bf16 a[208:211], a[152:153], v[74:75], a[208:211]// 000000007A04: D3E180D0 0F429598
	ds_read_b128 v[64:67], v19 offset:22016                    // 000000007A0C: D9FE5600 40000013
	v_mfma_f32_16x16x16_bf16 a[212:215], a[154:155], v[74:75], a[212:215]// 000000007A14: D3E180D4 0F52959A
	global_atomic_pk_add_bf16 v6, v138, s[32:33] offset:128    // 000000007A1C: DD488080 00208A06
	v_mfma_f32_16x16x16_bf16 a[216:219], a[156:157], v[74:75], a[216:219]// 000000007A24: D3E180D8 0F62959C
	ds_read_b128 v[68:71], v19 offset:23168                    // 000000007A2C: D9FE5A80 44000013
	v_mfma_f32_16x16x16_bf16 a[220:223], a[158:159], v[74:75], a[220:223]// 000000007A34: D3E180DC 0F72959E
	v_mfma_f32_16x16x16_bf16 a[224:227], a[144:145], v[76:77], a[224:227]// 000000007A3C: D3E180E0 0F829990
	ds_write_b32 v15, v88 offset:13056                         // 000000007A44: D81A3300 0000580F
	v_mfma_f32_16x16x16_bf16 a[228:231], a[146:147], v[76:77], a[228:231]// 000000007A4C: D3E180E4 0F929992
	v_mfma_f32_16x16x16_bf16 a[232:235], a[148:149], v[76:77], a[232:235]// 000000007A54: D3E180E8 0FA29994
	ds_write_b32 v15, v89 offset:14112                         // 000000007A5C: D81A3720 0000590F
	v_mfma_f32_16x16x16_bf16 a[236:239], a[150:151], v[76:77], a[236:239]// 000000007A64: D3E180EC 0FB29996
	global_atomic_pk_add_bf16 v8, v139, s[32:33] offset:128    // 000000007A6C: DD488080 00208B08
	v_mfma_f32_16x16x16_bf16 a[240:243], a[152:153], v[76:77], a[240:243]// 000000007A74: D3E180F0 0FC29998
	ds_write_b32 v15, v90 offset:13184                         // 000000007A7C: D81A3380 00005A0F
	v_mfma_f32_16x16x16_bf16 a[244:247], a[154:155], v[76:77], a[244:247]// 000000007A84: D3E180F4 0FD2999A
	v_mfma_f32_16x16x16_bf16 a[248:251], a[156:157], v[76:77], a[248:251]// 000000007A8C: D3E180F8 0FE2999C
	ds_write_b32 v15, v91 offset:14240                         // 000000007A94: D81A37A0 00005B0F
	v_mfma_f32_16x16x16_bf16 a[252:255], a[158:159], v[76:77], a[252:255]// 000000007A9C: D3E180FC 0FF2999E
	s_waitcnt vmcnt(4) lgkmcnt(4)                              // 000000007AA4: BF8C0474
	s_barrier                                                  // 000000007AA8: BF8A0000
	v_mfma_f32_16x16x16_bf16 v[128:131], a[48:49], v[48:49], 0 // 000000007AAC: D3E10080 0A026130
	ds_read_b128 a[144:147], v12                               // 000000007AB4: DBFE0000 9000000C
	buffer_load_dword v36, v1, s[8:11], 0 idxen                // 000000007ABC: E0502000 80022401
	v_mfma_f32_16x16x16_bf16 v[128:131], a[52:53], v[50:51], v[128:131]// 000000007AC4: D3E10080 0E026534
	v_mul_f32_e32 v124, s49, v124                              // 000000007ACC: 0AF8F831
	s_nop 0                                                    // 000000007AD0: BF800000
	v_mfma_f32_16x16x16_bf16 v[128:131], a[56:57], v[52:53], v[128:131]// 000000007AD4: D3E10080 0E026938
	ds_read_b128 a[148:151], v12 offset:512                    // 000000007ADC: DBFE0200 9400000C
	buffer_load_dword v37, v2, s[8:11], 0 idxen                // 000000007AE4: E0502000 80022502
	v_mfma_f32_16x16x16_bf16 v[128:131], a[60:61], v[54:55], v[128:131]// 000000007AEC: D3E10080 0E026D3C
	v_mfma_f32_16x16x16_bf16 v[128:131], a[64:65], v[56:57], v[128:131]// 000000007AF4: D3E10080 0E027140
	ds_read_b128 a[152:155], v12 offset:2176                   // 000000007AFC: DBFE0880 9800000C
	buffer_load_dword v38, v3, s[8:11], 0 idxen                // 000000007B04: E0502000 80022603
	v_mfma_f32_16x16x16_bf16 v[128:131], a[68:69], v[58:59], v[128:131]// 000000007B0C: D3E10080 0E027544
	v_perm_b32 v84, v33, v32, s63                              // 000000007B14: D1ED0054 00FE4121
	v_perm_b32 v85, v33, v32, s64                              // 000000007B1C: D1ED0055 01024121
	v_mfma_f32_16x16x16_bf16 v[128:131], a[72:73], v[60:61], v[128:131]// 000000007B24: D3E10080 0E027948
	ds_read_b128 a[156:159], v12 offset:2688                   // 000000007B2C: DBFE0A80 9C00000C
	buffer_load_dword v39, v4, s[8:11], 0 idxen                // 000000007B34: E0502000 80022704
	v_mfma_f32_16x16x16_bf16 v[128:131], a[76:77], v[62:63], v[128:131]// 000000007B3C: D3E10080 0E027D4C
	v_perm_b32 v86, v35, v34, s63                              // 000000007B44: D1ED0056 00FE4523
	v_perm_b32 v87, v35, v34, s64                              // 000000007B4C: D1ED0057 01024523
	v_mfma_f32_16x16x16_bf16 v[128:131], a[80:81], v[64:65], v[128:131]// 000000007B54: D3E10080 0E028150
	ds_read_b128 v[92:95], v12 offset:8704                     // 000000007B5C: D9FE2200 5C00000C
	buffer_load_dword v44, v1, s[20:23], 0 idxen               // 000000007B64: E0502000 80052C01
	v_mfma_f32_16x16x16_bf16 v[128:131], a[84:85], v[66:67], v[128:131]// 000000007B6C: D3E10080 0E028554
	v_perm_b32 v88, v41, v40, s63                              // 000000007B74: D1ED0058 00FE5129
	v_perm_b32 v89, v41, v40, s64                              // 000000007B7C: D1ED0059 01025129
	v_mfma_f32_16x16x16_bf16 v[128:131], a[88:89], v[68:69], v[128:131]// 000000007B84: D3E10080 0E028958
	ds_read_b128 v[96:99], v12 offset:9216                     // 000000007B8C: D9FE2400 6000000C
	buffer_load_dword v45, v2, s[20:23], 0 idxen               // 000000007B94: E0502000 80052D02
	v_mfma_f32_16x16x16_bf16 v[128:131], a[92:93], v[70:71], v[128:131]// 000000007B9C: D3E10080 0E028D5C
	v_perm_b32 v90, v43, v42, s63                              // 000000007BA4: D1ED005A 00FE552B
	v_perm_b32 v91, v43, v42, s64                              // 000000007BAC: D1ED005B 0102552B
	v_mfma_f32_16x16x16_bf16 v[132:135], a[50:51], v[48:49], 0 // 000000007BB4: D3E10084 0A026132
	ds_read_b128 v[100:103], v12 offset:10880                  // 000000007BBC: D9FE2A80 6400000C
	buffer_load_dword v46, v3, s[20:23], 0 idxen               // 000000007BC4: E0502000 80052E03
	v_mfma_f32_16x16x16_bf16 v[132:135], a[54:55], v[50:51], v[132:135]// 000000007BCC: D3E10084 0E126536
	v_mov_b32_dpp v127, v124 quad_perm:[3,3,3,3] row_mask:0xf bank_mask:0xf// 000000007BD4: 7EFE02FA FF00FF7C
	v_mov_b32_dpp v126, v124 quad_perm:[2,2,2,2] row_mask:0xf bank_mask:0xf// 000000007BDC: 7EFC02FA FF00AA7C
	v_mfma_f32_16x16x16_bf16 v[132:135], a[58:59], v[52:53], v[132:135]// 000000007BE4: D3E10084 0E12693A
	ds_read_b128 v[104:107], v12 offset:11392                  // 000000007BEC: D9FE2C80 6800000C
	buffer_load_dword v47, v4, s[20:23], 0 idxen               // 000000007BF4: E0502000 80052F04
	v_mfma_f32_16x16x16_bf16 v[132:135], a[62:63], v[54:55], v[132:135]// 000000007BFC: D3E10084 0E126D3E
	v_mov_b32_dpp v125, v124 quad_perm:[1,1,1,1] row_mask:0xf bank_mask:0xf// 000000007C04: 7EFA02FA FF00557C
	v_mov_b32_dpp v124, v124 quad_perm:[0,0,0,0] row_mask:0xf bank_mask:0xf// 000000007C0C: 7EF802FA FF00007C
	s_add_u32 s60, 64, s59                                     // 000000007C14: 803C3BC0
	v_mfma_f32_16x16x16_bf16 v[132:135], a[66:67], v[56:57], v[132:135]// 000000007C18: D3E10084 0E127142
	buffer_load_dword v11, s[24:27], 0 idxen lds               // 000000007C20: E0512000 8006000B
	v_mfma_f32_16x16x16_bf16 v[132:135], a[70:71], v[58:59], v[132:135]// 000000007C28: D3E10084 0E127546
	s_cmp_lt_u32 s60, s58                                      // 000000007C30: BF0A3A3C
	s_cselect_b32 s68, s68, 0                                  // 000000007C34: 85448044
	s_cselect_b32 s69, s69, 0                                  // 000000007C38: 85458045
	v_mfma_f32_16x16x16_bf16 v[132:135], a[74:75], v[60:61], v[132:135]// 000000007C3C: D3E10084 0E12794A
	s_add_u32 s8, s68, s8                                      // 000000007C44: 80080844
	s_addc_u32 s9, 0, s9                                       // 000000007C48: 82090980
	v_mfma_f32_16x16x16_bf16 v[132:135], a[78:79], v[62:63], v[132:135]// 000000007C4C: D3E10084 0E127D4E
	s_add_u32 s20, s68, s20                                    // 000000007C54: 80141444
	s_addc_u32 s21, 0, s21                                     // 000000007C58: 82151580
	v_mfma_f32_16x16x16_bf16 v[132:135], a[82:83], v[64:65], v[132:135]// 000000007C5C: D3E10084 0E128152
	s_mov_b32 m0, s80                                          // 000000007C64: BEFC0050
	v_add_u32_e32 v11, s69, v11                                // 000000007C68: 68161645
	v_mfma_f32_16x16x16_bf16 v[132:135], a[86:87], v[66:67], v[132:135]// 000000007C6C: D3E10084 0E128556
	s_cmp_ge_u32 s59, s73                                      // 000000007C74: BF09493B
	s_cselect_b32 s66, s67, s66                                // 000000007C78: 85424243
	v_mfma_f32_16x16x16_bf16 v[132:135], a[90:91], v[68:69], v[132:135]// 000000007C7C: D3E10084 0E12895A
	s_addk_i32 s59, 0x10                                       // 000000007C84: B73B0010
	s_nop 0                                                    // 000000007C88: BF800000
	s_cmp_lt_i32 s59, s58                                      // 000000007C8C: BF043A3B
	v_mfma_f32_16x16x16_bf16 v[132:135], a[94:95], v[70:71], v[132:135]// 000000007C90: D3E10084 0E128D5E
	s_cbranch_scc0 label_0CF8                                  // 000000007C98: BF84FD51
	s_waitcnt lgkmcnt(4)                                       // 000000007C9C: BF8CC47F
	s_barrier                                                  // 000000007CA0: BF8A0000
	v_mfma_f32_16x16x16_bf16 v[48:51], a[144:145], a[0:1], 0   // 000000007CA4: D3E10030 1A020190
	v_mul_f32_e32 v128, s48, v128                              // 000000007CAC: 0B010030
	v_mul_f32_e32 v129, s48, v129                              // 000000007CB0: 0B030230
	v_mfma_f32_16x16x16_bf16 v[48:51], a[146:147], a[2:3], v[48:51]// 000000007CB4: D3E10030 1CC20592
	ds_write_b32 v13, v40 offset:8704                          // 000000007CBC: D81A2200 0000280D
	ds_write_b32 v13, v41 offset:9760                          // 000000007CC4: D81A2620 0000290D
	v_mfma_f32_16x16x16_bf16 v[48:51], a[148:149], a[4:5], v[48:51]// 000000007CCC: D3E10030 1CC20994
	v_mul_f32_e32 v130, s48, v130                              // 000000007CD4: 0B050430
	v_mul_f32_e32 v131, s48, v131                              // 000000007CD8: 0B070630
	v_mfma_f32_16x16x16_bf16 v[48:51], a[150:151], a[6:7], v[48:51]// 000000007CDC: D3E10030 1CC20D96
	ds_write_b32 v13, v42 offset:8832                          // 000000007CE4: D81A2280 00002A0D
	ds_write_b32 v13, v43 offset:9888                          // 000000007CEC: D81A26A0 00002B0D
	v_mfma_f32_16x16x16_bf16 v[48:51], a[152:153], a[8:9], v[48:51]// 000000007CF4: D3E10030 1CC21198
	v_mul_f32_e32 v132, s48, v132                              // 000000007CFC: 0B090830
	v_mul_f32_e32 v133, s48, v133                              // 000000007D00: 0B0B0A30
	v_mfma_f32_16x16x16_bf16 v[48:51], a[154:155], a[10:11], v[48:51]// 000000007D04: D3E10030 1CC2159A
	v_mul_f32_e32 v134, s48, v134                              // 000000007D0C: 0B0D0C30
	v_mul_f32_e32 v135, s48, v135                              // 000000007D10: 0B0F0E30
	v_mfma_f32_16x16x16_bf16 v[48:51], a[156:157], a[12:13], v[48:51]// 000000007D14: D3E10030 1CC2199C
	v_perm_b32 v128, v129, v128, s64                           // 000000007D1C: D1ED0080 01030181
	v_perm_b32 v129, v131, v130, s64                           // 000000007D24: D1ED0081 01030583
	v_mfma_f32_16x16x16_bf16 v[48:51], a[158:159], a[14:15], v[48:51]// 000000007D2C: D3E10030 1CC21D9E
	v_perm_b32 v130, v133, v132, s64                           // 000000007D34: D1ED0082 01030985
	v_perm_b32 v131, v135, v134, s64                           // 000000007D3C: D1ED0083 01030D87
	v_mfma_f32_16x16x16_bf16 v[52:55], a[144:145], a[16:17], 0 // 000000007D44: D3E10034 1A022190
	v_mfma_f32_16x16x16_bf16 v[52:55], a[146:147], a[18:19], v[52:55]// 000000007D4C: D3E10034 1CD22592
	ds_write_b64 v22, v[128:129] offset:24320                  // 000000007D54: D89A5F00 00008016
	v_mfma_f32_16x16x16_bf16 v[52:55], a[148:149], a[20:21], v[52:55]// 000000007D5C: D3E10034 1CD22994
	v_mfma_f32_16x16x16_bf16 v[52:55], a[150:151], a[22:23], v[52:55]// 000000007D64: D3E10034 1CD22D96
	ds_write_b64 v22, v[130:131] offset:24864                  // 000000007D6C: D89A6120 00008216
	v_mfma_f32_16x16x16_bf16 v[52:55], a[152:153], a[24:25], v[52:55]// 000000007D74: D3E10034 1CD23198
	v_mfma_f32_16x16x16_bf16 v[52:55], a[154:155], a[26:27], v[52:55]// 000000007D7C: D3E10034 1CD2359A
	ds_read_b128 v[108:111], v14 offset:13056                  // 000000007D84: D9FE3300 6C00000E
	ds_write_b32 v13, v32                                      // 000000007D8C: D81A0000 0000200D
	v_mfma_f32_16x16x16_bf16 v[52:55], a[156:157], a[28:29], v[52:55]// 000000007D94: D3E10034 1CD2399C
	v_mfma_f32_16x16x16_bf16 v[52:55], a[158:159], a[30:31], v[52:55]// 000000007D9C: D3E10034 1CD23D9E
	v_mfma_f32_16x16x16_bf16 v[56:59], a[144:145], a[32:33], 0 // 000000007DA4: D3E10038 1A024190
	ds_read_b128 v[112:115], v14 offset:13568                  // 000000007DAC: D9FE3500 7000000E
	ds_write_b32 v13, v33 offset:1056                          // 000000007DB4: D81A0420 0000210D
	v_mfma_f32_16x16x16_bf16 v[56:59], a[146:147], a[34:35], v[56:59]// 000000007DBC: D3E10038 1CE24592
	v_mfma_f32_16x16x16_bf16 v[56:59], a[148:149], a[36:37], v[56:59]// 000000007DC4: D3E10038 1CE24994
	v_mfma_f32_16x16x16_bf16 v[56:59], a[150:151], a[38:39], v[56:59]// 000000007DCC: D3E10038 1CE24D96
	ds_read_b128 v[116:119], v14 offset:15232                  // 000000007DD4: D9FE3B80 7400000E
	ds_write_b32 v13, v34 offset:128                           // 000000007DDC: D81A0080 0000220D
	v_mfma_f32_16x16x16_bf16 v[56:59], a[152:153], a[40:41], v[56:59]// 000000007DE4: D3E10038 1CE25198
	v_mfma_f32_16x16x16_bf16 v[56:59], a[154:155], a[42:43], v[56:59]// 000000007DEC: D3E10038 1CE2559A
	v_mfma_f32_16x16x16_bf16 v[56:59], a[156:157], a[44:45], v[56:59]// 000000007DF4: D3E10038 1CE2599C
	ds_read_b128 v[120:123], v14 offset:15744                  // 000000007DFC: D9FE3D80 7800000E
	ds_write_b32 v13, v35 offset:1184                          // 000000007E04: D81A04A0 0000230D
	v_mfma_f32_16x16x16_bf16 v[56:59], a[158:159], a[46:47], v[56:59]// 000000007E0C: D3E10038 1CE25D9E
	s_cmp_lt_i32 s74, 12                                       // 000000007E14: BF048C4A
	s_cbranch_scc0 label_107C                                  // 000000007E18: BF840075
	s_mov_b32 s60, 0xffe0fffe                                  // 000000007E1C: BEBC00FF FFE0FFFE
	s_mov_b32 s61, 0xe000fe00                                  // 000000007E24: BEBD00FF E000FE00
	s_nop 0                                                    // 000000007E2C: BF800000
	s_add_u32 s62, 0, s47                                      // 000000007E30: 803E2F80
	s_cmp_lt_i32 s74, s62                                      // 000000007E34: BF043E4A
	s_cbranch_scc1 label_1037                                  // 000000007E38: BF850028
	s_cmp_eq_i32 s74, s62                                      // 000000007E3C: BF003E4A
	s_cbranch_scc1 label_101C                                  // 000000007E40: BF85000B
	s_add_u32 s62, 4, s47                                      // 000000007E44: 803E2F84
	s_cmp_lt_i32 s74, s62                                      // 000000007E48: BF043E4A
	s_cbranch_scc1 label_1057                                  // 000000007E4C: BF850043
	s_cmp_eq_i32 s74, s62                                      // 000000007E50: BF003E4A
	s_cbranch_scc1 label_103C                                  // 000000007E54: BF850026
	s_add_u32 s62, 8, s47                                      // 000000007E58: 803E2F88
	s_cmp_lt_i32 s74, s62                                      // 000000007E5C: BF043E4A
	s_cbranch_scc1 label_1077                                  // 000000007E60: BF85005E
	s_cmp_eq_i32 s74, s62                                      // 000000007E64: BF003E4A
	s_cbranch_scc1 label_105C                                  // 000000007E68: BF850041
	s_branch label_107C                                        // 000000007E6C: BF820060

0000000000007e70 <label_101C>:
	v_cndmask_b32_e64 v48, v48, v151, s[60:61]                 // 000000007E70: D1000030 00F32F30
	s_lshl_b32 s60, s60, 1                                     // 000000007E78: 8E3C813C
	s_lshl_b32 s61, s61, 1                                     // 000000007E7C: 8E3D813D
	s_and_b32 s60, 0xfffeffff, s60                             // 000000007E80: 863C3CFF FFFEFFFF
	s_and_b32 s61, 0xfffeffff, s61                             // 000000007E88: 863D3DFF FFFEFFFF
	v_cndmask_b32_e64 v49, v49, v151, s[60:61]                 // 000000007E90: D1000031 00F32F31
	s_lshl_b32 s60, s60, 1                                     // 000000007E98: 8E3C813C
	s_lshl_b32 s61, s61, 1                                     // 000000007E9C: 8E3D813D
	s_and_b32 s60, 0xfffeffff, s60                             // 000000007EA0: 863C3CFF FFFEFFFF
	s_and_b32 s61, 0xfffeffff, s61                             // 000000007EA8: 863D3DFF FFFEFFFF
	v_cndmask_b32_e64 v50, v50, v151, s[60:61]                 // 000000007EB0: D1000032 00F32F32
	s_lshl_b32 s60, s60, 1                                     // 000000007EB8: 8E3C813C
	s_lshl_b32 s61, s61, 1                                     // 000000007EBC: 8E3D813D
	s_and_b32 s60, 0xfffeffff, s60                             // 000000007EC0: 863C3CFF FFFEFFFF
	s_and_b32 s61, 0xfffeffff, s61                             // 000000007EC8: 863D3DFF FFFEFFFF
	v_cndmask_b32_e64 v51, v51, v151, s[60:61]                 // 000000007ED0: D1000033 00F32F33
	s_branch label_1057                                        // 000000007ED8: BF820020

0000000000007edc <label_1037>:
	v_mov_b32_e32 v48, v151                                    // 000000007EDC: 7E600397
	v_mov_b32_e32 v49, v151                                    // 000000007EE0: 7E620397
	v_mov_b32_e32 v50, v151                                    // 000000007EE4: 7E640397
	v_mov_b32_e32 v51, v151                                    // 000000007EE8: 7E660397
	s_branch label_1057                                        // 000000007EEC: BF82001B

0000000000007ef0 <label_103C>:
	v_cndmask_b32_e64 v52, v52, v151, s[60:61]                 // 000000007EF0: D1000034 00F32F34
	s_lshl_b32 s60, s60, 1                                     // 000000007EF8: 8E3C813C
	s_lshl_b32 s61, s61, 1                                     // 000000007EFC: 8E3D813D
	s_and_b32 s60, 0xfffeffff, s60                             // 000000007F00: 863C3CFF FFFEFFFF
	s_and_b32 s61, 0xfffeffff, s61                             // 000000007F08: 863D3DFF FFFEFFFF
	v_cndmask_b32_e64 v53, v53, v151, s[60:61]                 // 000000007F10: D1000035 00F32F35
	s_lshl_b32 s60, s60, 1                                     // 000000007F18: 8E3C813C
	s_lshl_b32 s61, s61, 1                                     // 000000007F1C: 8E3D813D
	s_and_b32 s60, 0xfffeffff, s60                             // 000000007F20: 863C3CFF FFFEFFFF
	s_and_b32 s61, 0xfffeffff, s61                             // 000000007F28: 863D3DFF FFFEFFFF
	v_cndmask_b32_e64 v54, v54, v151, s[60:61]                 // 000000007F30: D1000036 00F32F36
	s_lshl_b32 s60, s60, 1                                     // 000000007F38: 8E3C813C
	s_lshl_b32 s61, s61, 1                                     // 000000007F3C: 8E3D813D
	s_and_b32 s60, 0xfffeffff, s60                             // 000000007F40: 863C3CFF FFFEFFFF
	s_and_b32 s61, 0xfffeffff, s61                             // 000000007F48: 863D3DFF FFFEFFFF
	v_cndmask_b32_e64 v55, v55, v151, s[60:61]                 // 000000007F50: D1000037 00F32F37
	s_branch label_1077                                        // 000000007F58: BF820020

0000000000007f5c <label_1057>:
	v_mov_b32_e32 v52, v151                                    // 000000007F5C: 7E680397
	v_mov_b32_e32 v53, v151                                    // 000000007F60: 7E6A0397
	v_mov_b32_e32 v54, v151                                    // 000000007F64: 7E6C0397
	v_mov_b32_e32 v55, v151                                    // 000000007F68: 7E6E0397
	s_branch label_1077                                        // 000000007F6C: BF82001B

0000000000007f70 <label_105C>:
	v_cndmask_b32_e64 v56, v56, v151, s[60:61]                 // 000000007F70: D1000038 00F32F38
	s_lshl_b32 s60, s60, 1                                     // 000000007F78: 8E3C813C
	s_lshl_b32 s61, s61, 1                                     // 000000007F7C: 8E3D813D
	s_and_b32 s60, 0xfffeffff, s60                             // 000000007F80: 863C3CFF FFFEFFFF
	s_and_b32 s61, 0xfffeffff, s61                             // 000000007F88: 863D3DFF FFFEFFFF
	v_cndmask_b32_e64 v57, v57, v151, s[60:61]                 // 000000007F90: D1000039 00F32F39
	s_lshl_b32 s60, s60, 1                                     // 000000007F98: 8E3C813C
	s_lshl_b32 s61, s61, 1                                     // 000000007F9C: 8E3D813D
	s_and_b32 s60, 0xfffeffff, s60                             // 000000007FA0: 863C3CFF FFFEFFFF
	s_and_b32 s61, 0xfffeffff, s61                             // 000000007FA8: 863D3DFF FFFEFFFF
	v_cndmask_b32_e64 v58, v58, v151, s[60:61]                 // 000000007FB0: D100003A 00F32F3A
	s_lshl_b32 s60, s60, 1                                     // 000000007FB8: 8E3C813C
	s_lshl_b32 s61, s61, 1                                     // 000000007FBC: 8E3D813D
	s_and_b32 s60, 0xfffeffff, s60                             // 000000007FC0: 863C3CFF FFFEFFFF
	s_and_b32 s61, 0xfffeffff, s61                             // 000000007FC8: 863D3DFF FFFEFFFF
	v_cndmask_b32_e64 v59, v59, v151, s[60:61]                 // 000000007FD0: D100003B 00F32F3B
	s_branch label_107C                                        // 000000007FD8: BF820005

0000000000007fdc <label_1077>:
	v_mov_b32_e32 v56, v151                                    // 000000007FDC: 7E700397
	v_mov_b32_e32 v57, v151                                    // 000000007FE0: 7E720397
	v_mov_b32_e32 v58, v151                                    // 000000007FE4: 7E740397
	v_mov_b32_e32 v59, v151                                    // 000000007FE8: 7E760397
	s_branch label_107C                                        // 000000007FEC: BF820000

0000000000007ff0 <label_107C>:
	s_addk_i32 s74, 0x1                                        // 000000007FF0: B74A0001
	s_waitcnt lgkmcnt(8)                                       // 000000007FF4: BF8CC87F
	s_barrier                                                  // 000000007FF8: BF8A0000
	v_mfma_f32_16x16x16_bf16 v[72:75], v[92:93], a[96:97], 0   // 000000007FFC: D3E10048 1202C15C
	v_fma_f32 v48, v48, s57, -v124                             // 000000008004: D1CB0030 85F07330
	v_fma_f32 v49, v49, s57, -v125                             // 00000000800C: D1CB0031 85F47331
	v_fma_f32 v50, v50, s57, -v126                             // 000000008014: D1CB0032 85F87332
	v_mfma_f32_16x16x16_bf16 v[72:75], v[94:95], a[98:99], v[72:75]// 00000000801C: D3E10048 1522C55E
	ds_read_b128 a[144:147], v14 offset:4352                   // 000000008024: DBFE1100 9000000E
	ds_read_b128 a[148:151], v14 offset:4864                   // 00000000802C: DBFE1300 9400000E
	v_mfma_f32_16x16x16_bf16 v[72:75], v[96:97], a[100:101], v[72:75]// 000000008034: D3E10048 1522C960
	v_fma_f32 v51, v51, s57, -v127                             // 00000000803C: D1CB0033 85FC7333
	v_fma_f32 v52, v52, s57, -v124                             // 000000008044: D1CB0034 85F07334
	v_fma_f32 v53, v53, s57, -v125                             // 00000000804C: D1CB0035 85F47335
	v_mfma_f32_16x16x16_bf16 v[72:75], v[98:99], a[102:103], v[72:75]// 000000008054: D3E10048 1522CD62
	v_fma_f32 v54, v54, s57, -v126                             // 00000000805C: D1CB0036 85F87336
	v_fma_f32 v55, v55, s57, -v127                             // 000000008064: D1CB0037 85FC7337
	v_fma_f32 v56, v56, s57, -v124                             // 00000000806C: D1CB0038 85F07338
	v_mfma_f32_16x16x16_bf16 v[72:75], v[100:101], a[104:105], v[72:75]// 000000008074: D3E10048 1522D164
	v_fma_f32 v57, v57, s57, -v125                             // 00000000807C: D1CB0039 85F47339
	v_fma_f32 v58, v58, s57, -v126                             // 000000008084: D1CB003A 85F8733A
	v_fma_f32 v59, v59, s57, -v127                             // 00000000808C: D1CB003B 85FC733B
	v_mfma_f32_16x16x16_bf16 v[72:75], v[102:103], a[106:107], v[72:75]// 000000008094: D3E10048 1522D566
	ds_read_b128 a[152:155], v14 offset:6528                   // 00000000809C: DBFE1980 9800000E
	ds_read_b128 a[156:159], v14 offset:7040                   // 0000000080A4: DBFE1B80 9C00000E
	v_mfma_f32_16x16x16_bf16 v[72:75], v[104:105], a[108:109], v[72:75]// 0000000080AC: D3E10048 1522D968
	v_exp_f32_e32 v48, v48                                     // 0000000080B4: 7E604130
	v_mfma_f32_16x16x16_bf16 v[72:75], v[106:107], a[110:111], v[72:75]// 0000000080B8: D3E10048 1522DD6A
	v_exp_f32_e32 v49, v49                                     // 0000000080C0: 7E624131
	v_mfma_f32_16x16x16_bf16 v[76:79], v[92:93], a[112:113], 0 // 0000000080C4: D3E1004C 1202E15C
	v_exp_f32_e32 v50, v50                                     // 0000000080CC: 7E644132
	v_mfma_f32_16x16x16_bf16 v[76:79], v[94:95], a[114:115], v[76:79]// 0000000080D0: D3E1004C 1532E55E
	ds_read_b32 v136, v21 offset:24320                         // 0000000080D8: D86C5F00 88000015
	ds_read_b32 v137, v21 offset:24336                         // 0000000080E0: D86C5F10 89000015
	v_mfma_f32_16x16x16_bf16 v[76:79], v[96:97], a[116:117], v[76:79]// 0000000080E8: D3E1004C 1532E960
	v_exp_f32_e32 v51, v51                                     // 0000000080F0: 7E664133
	v_mfma_f32_16x16x16_bf16 v[76:79], v[98:99], a[118:119], v[76:79]// 0000000080F4: D3E1004C 1532ED62
	ds_read_b32 v138, v21 offset:26496                         // 0000000080FC: D86C6780 8A000015
	ds_read_b32 v139, v21 offset:26512                         // 000000008104: D86C6790 8B000015
	v_mfma_f32_16x16x16_bf16 v[76:79], v[100:101], a[120:121], v[76:79]// 00000000810C: D3E1004C 1532F164
	v_exp_f32_e32 v52, v52                                     // 000000008114: 7E684134
	v_mfma_f32_16x16x16_bf16 v[76:79], v[102:103], a[122:123], v[76:79]// 000000008118: D3E1004C 1532F566
	v_exp_f32_e32 v53, v53                                     // 000000008120: 7E6A4135
	v_mfma_f32_16x16x16_bf16 v[76:79], v[104:105], a[124:125], v[76:79]// 000000008124: D3E1004C 1532F968
	v_exp_f32_e32 v54, v54                                     // 00000000812C: 7E6C4136
	v_mfma_f32_16x16x16_bf16 v[76:79], v[106:107], a[126:127], v[76:79]// 000000008130: D3E1004C 1532FD6A
	v_exp_f32_e32 v55, v55                                     // 000000008138: 7E6E4137
	v_mfma_f32_16x16x16_bf16 v[80:83], v[92:93], a[128:129], 0 // 00000000813C: D3E10050 1203015C
	v_exp_f32_e32 v56, v56                                     // 000000008144: 7E704138
	v_mfma_f32_16x16x16_bf16 v[80:83], v[94:95], a[130:131], v[80:83]// 000000008148: D3E10050 1543055E
	v_exp_f32_e32 v57, v57                                     // 000000008150: 7E724139
	v_mfma_f32_16x16x16_bf16 v[80:83], v[96:97], a[132:133], v[80:83]// 000000008154: D3E10050 15430960
	v_exp_f32_e32 v58, v58                                     // 00000000815C: 7E74413A
	v_mfma_f32_16x16x16_bf16 v[80:83], v[98:99], a[134:135], v[80:83]// 000000008160: D3E10050 15430D62
	v_exp_f32_e32 v59, v59                                     // 000000008168: 7E76413B
	v_mfma_f32_16x16x16_bf16 v[80:83], v[100:101], a[136:137], v[80:83]// 00000000816C: D3E10050 15431164
	v_perm_b32 v144, v49, v48, s64                             // 000000008174: D1ED0090 01026131
	v_perm_b32 v145, v51, v50, s64                             // 00000000817C: D1ED0091 01026533
	v_perm_b32 v146, v53, v52, s64                             // 000000008184: D1ED0092 01026935
	v_mfma_f32_16x16x16_bf16 v[80:83], v[102:103], a[138:139], v[80:83]// 00000000818C: D3E10050 15431566
	v_perm_b32 v147, v55, v54, s64                             // 000000008194: D1ED0093 01026D37
	v_perm_b32 v148, v57, v56, s64                             // 00000000819C: D1ED0094 01027139
	v_perm_b32 v149, v59, v58, s64                             // 0000000081A4: D1ED0095 0102753B
	v_mfma_f32_16x16x16_bf16 v[80:83], v[104:105], a[140:141], v[80:83]// 0000000081AC: D3E10050 15431968
	s_add_u32 s32, s66, s32                                    // 0000000081B4: 80202042
	s_addc_u32 s33, 0, s33                                     // 0000000081B8: 82212180
	v_mfma_f32_16x16x16_bf16 v[80:83], v[106:107], a[142:143], v[80:83]// 0000000081BC: D3E10050 15431D6A
	s_waitcnt lgkmcnt(0)                                       // 0000000081C4: BF8CC07F
	s_barrier                                                  // 0000000081C8: BF8A0000
	v_mfma_f32_16x16x16_bf16 v[152:155], v[108:109], v[144:145], v[152:155]// 0000000081CC: D3E10098 0663216C
	v_subrev_f32_dpp v72, v150, v72 quad_perm:[0,0,0,0] row_mask:0xf bank_mask:0xf// 0000000081D4: 069090FA FF000096
	v_subrev_f32_dpp v73, v150, v73 quad_perm:[1,1,1,1] row_mask:0xf bank_mask:0xf// 0000000081DC: 069292FA FF005596
	v_subrev_f32_dpp v74, v150, v74 quad_perm:[2,2,2,2] row_mask:0xf bank_mask:0xf// 0000000081E4: 069494FA FF00AA96
	v_mfma_f32_16x16x16_bf16 v[156:159], v[110:111], v[144:145], v[156:159]// 0000000081EC: D3E1009C 0673216E
	v_subrev_f32_dpp v75, v150, v75 quad_perm:[3,3,3,3] row_mask:0xf bank_mask:0xf// 0000000081F4: 069696FA FF00FF96
	v_subrev_f32_dpp v76, v150, v76 quad_perm:[0,0,0,0] row_mask:0xf bank_mask:0xf// 0000000081FC: 069898FA FF000096
	v_subrev_f32_dpp v77, v150, v77 quad_perm:[1,1,1,1] row_mask:0xf bank_mask:0xf// 000000008204: 069A9AFA FF005596
	v_mfma_f32_16x16x16_bf16 v[160:163], v[112:113], v[144:145], v[160:163]// 00000000820C: D3E100A0 06832170
	v_mul_f32_e32 v72, v48, v72                                // 000000008214: 0A909130
	v_mul_f32_e32 v73, v49, v73                                // 000000008218: 0A929331
	v_mul_f32_e32 v74, v50, v74                                // 00000000821C: 0A949532
	v_mfma_f32_16x16x16_bf16 v[164:167], v[114:115], v[144:145], v[164:167]// 000000008220: D3E100A4 06932172
	v_mul_f32_e32 v75, v51, v75                                // 000000008228: 0A969733
	v_mul_f32_e32 v76, v52, v76                                // 00000000822C: 0A989934
	v_mul_f32_e32 v77, v53, v77                                // 000000008230: 0A9A9B35
	v_mfma_f32_16x16x16_bf16 v[168:171], v[116:117], v[144:145], v[168:171]// 000000008234: D3E100A8 06A32174
	v_perm_b32 v72, v73, v72, s64                              // 00000000823C: D1ED0048 01029149
	v_perm_b32 v73, v75, v74, s64                              // 000000008244: D1ED0049 0102954B
	v_perm_b32 v74, v77, v76, s64                              // 00000000824C: D1ED004A 0102994D
	v_mfma_f32_16x16x16_bf16 v[172:175], v[118:119], v[144:145], v[172:175]// 000000008254: D3E100AC 06B32176
	v_mov_b32_dpp v18, v72 quad_perm:[1,0,3,2] row_mask:0xf bank_mask:0xf// 00000000825C: 7E2402FA FF00B148
	v_perm_b32 v48, v18, v72, v17                              // 000000008264: D1ED0030 04469112
	v_mov_b32_dpp v18, v73 quad_perm:[1,0,3,2] row_mask:0xf bank_mask:0xf// 00000000826C: 7E2402FA FF00B149
	v_mfma_f32_16x16x16_bf16 v[176:179], v[120:121], v[144:145], v[176:179]// 000000008274: D3E100B0 06C32178
	ds_write_b32 v20, v48 offset:17408                         // 00000000827C: D81A4400 00003014
	v_mfma_f32_16x16x16_bf16 v[180:183], v[122:123], v[144:145], v[180:183]// 000000008284: D3E100B4 06D3217A
	v_perm_b32 v49, v18, v73, v17                              // 00000000828C: D1ED0031 04469312
	v_mov_b32_dpp v18, v74 quad_perm:[1,0,3,2] row_mask:0xf bank_mask:0xf// 000000008294: 7E2402FA FF00B14A
	v_perm_b32 v50, v18, v74, v17                              // 00000000829C: D1ED0032 04469512
	v_mfma_f32_16x16x16_bf16 v[184:187], v[108:109], v[146:147], v[184:187]// 0000000082A4: D3E100B8 06E3256C
	ds_write_b32 v20, v49 offset:17952                         // 0000000082AC: D81A4620 00003114
	v_mfma_f32_16x16x16_bf16 v[188:191], v[110:111], v[146:147], v[188:191]// 0000000082B4: D3E100BC 06F3256E
	v_subrev_f32_dpp v78, v150, v78 quad_perm:[2,2,2,2] row_mask:0xf bank_mask:0xf// 0000000082BC: 069C9CFA FF00AA96
	v_subrev_f32_dpp v79, v150, v79 quad_perm:[3,3,3,3] row_mask:0xf bank_mask:0xf// 0000000082C4: 069E9EFA FF00FF96
	v_subrev_f32_dpp v80, v150, v80 quad_perm:[0,0,0,0] row_mask:0xf bank_mask:0xf// 0000000082CC: 06A0A0FA FF000096
	v_mfma_f32_16x16x16_bf16 v[192:195], v[112:113], v[146:147], v[192:195]// 0000000082D4: D3E100C0 07032570
	ds_write_b32 v20, v50 offset:19712                         // 0000000082DC: D81A4D00 00003214
	v_mfma_f32_16x16x16_bf16 v[196:199], v[114:115], v[146:147], v[196:199]// 0000000082E4: D3E100C4 07132572
	v_subrev_f32_dpp v81, v150, v81 quad_perm:[1,1,1,1] row_mask:0xf bank_mask:0xf// 0000000082EC: 06A2A2FA FF005596
	v_subrev_f32_dpp v82, v150, v82 quad_perm:[2,2,2,2] row_mask:0xf bank_mask:0xf// 0000000082F4: 06A4A4FA FF00AA96
	v_subrev_f32_dpp v83, v150, v83 quad_perm:[3,3,3,3] row_mask:0xf bank_mask:0xf// 0000000082FC: 06A6A6FA FF00FF96
	v_mfma_f32_16x16x16_bf16 v[200:203], v[116:117], v[146:147], v[200:203]// 000000008304: D3E100C8 07232574
	v_mul_f32_e32 v78, v54, v78                                // 00000000830C: 0A9C9D36
	v_mul_f32_e32 v79, v55, v79                                // 000000008310: 0A9E9F37
	v_mul_f32_e32 v80, v56, v80                                // 000000008314: 0AA0A138
	v_mfma_f32_16x16x16_bf16 v[204:207], v[118:119], v[146:147], v[204:207]// 000000008318: D3E100CC 07332576
	v_mul_f32_e32 v81, v57, v81                                // 000000008320: 0AA2A339
	v_mul_f32_e32 v82, v58, v82                                // 000000008324: 0AA4A53A
	v_mul_f32_e32 v83, v59, v83                                // 000000008328: 0AA6A73B
	v_mfma_f32_16x16x16_bf16 v[208:211], v[120:121], v[146:147], v[208:211]// 00000000832C: D3E100D0 07432578
	v_perm_b32 v75, v79, v78, s64                              // 000000008334: D1ED004B 01029D4F
	v_perm_b32 v76, v81, v80, s64                              // 00000000833C: D1ED004C 0102A151
	v_perm_b32 v77, v83, v82, s64                              // 000000008344: D1ED004D 0102A553
	v_mfma_f32_16x16x16_bf16 v[212:215], v[122:123], v[146:147], v[212:215]// 00000000834C: D3E100D4 0753257A
	v_mov_b32_dpp v18, v75 quad_perm:[1,0,3,2] row_mask:0xf bank_mask:0xf// 000000008354: 7E2402FA FF00B14B
	v_perm_b32 v51, v18, v75, v17                              // 00000000835C: D1ED0033 04469712
	v_mov_b32_dpp v18, v76 quad_perm:[1,0,3,2] row_mask:0xf bank_mask:0xf// 000000008364: 7E2402FA FF00B14C
	v_mfma_f32_16x16x16_bf16 v[216:219], v[108:109], v[148:149], v[216:219]// 00000000836C: D3E100D8 0763296C
	ds_write_b32 v20, v51 offset:20256                         // 000000008374: D81A4F20 00003314
	v_mfma_f32_16x16x16_bf16 v[220:223], v[110:111], v[148:149], v[220:223]// 00000000837C: D3E100DC 0773296E
	v_perm_b32 v52, v18, v76, v17                              // 000000008384: D1ED0034 04469912
	v_mov_b32_dpp v18, v77 quad_perm:[1,0,3,2] row_mask:0xf bank_mask:0xf// 00000000838C: 7E2402FA FF00B14D
	v_perm_b32 v53, v18, v77, v17                              // 000000008394: D1ED0035 04469B12
	v_mfma_f32_16x16x16_bf16 v[224:227], v[112:113], v[148:149], v[224:227]// 00000000839C: D3E100E0 07832970
	ds_write_b32 v20, v52 offset:22016                         // 0000000083A4: D81A5600 00003414
	ds_write_b32 v20, v53 offset:22560                         // 0000000083AC: D81A5820 00003514
	v_mfma_f32_16x16x16_bf16 v[228:231], v[114:115], v[148:149], v[228:231]// 0000000083B4: D3E100E4 07932972
	v_mfma_f32_16x16x16_bf16 v[232:235], v[116:117], v[148:149], v[232:235]// 0000000083BC: D3E100E8 07A32974
	ds_write_b32 v15, v84 offset:4352                          // 0000000083C4: D81A1100 0000540F
	ds_write_b32 v15, v85 offset:5408                          // 0000000083CC: D81A1520 0000550F
	v_mfma_f32_16x16x16_bf16 v[236:239], v[118:119], v[148:149], v[236:239]// 0000000083D4: D3E100EC 07B32976
	v_mfma_f32_16x16x16_bf16 v[240:243], v[120:121], v[148:149], v[240:243]// 0000000083DC: D3E100F0 07C32978
	ds_write_b32 v15, v86 offset:4480                          // 0000000083E4: D81A1180 0000560F
	ds_write_b32 v15, v87 offset:5536                          // 0000000083EC: D81A15A0 0000570F
	v_mfma_f32_16x16x16_bf16 v[244:247], v[122:123], v[148:149], v[244:247]// 0000000083F4: D3E100F4 07D3297A
	s_nop 0                                                    // 0000000083FC: BF800000
	s_nop 0                                                    // 000000008400: BF800000
	s_nop 0                                                    // 000000008404: BF800000
	s_barrier                                                  // 000000008408: BF8A0000
	v_mfma_f32_16x16x16_bf16 a[160:163], a[144:145], v[72:73], a[160:163]// 00000000840C: D3E180A0 0E829190
	ds_read_b32 v124, v23 offset:50688                         // 000000008414: D86CC600 7C000017
	ds_read_b32 v150, v23 offset:50944                         // 00000000841C: D86CC700 96000017
	v_mfma_f32_16x16x16_bf16 a[164:167], a[146:147], v[72:73], a[164:167]// 000000008424: D3E180A4 0E929192
	global_atomic_pk_add_bf16 v6, v136, s[32:33]               // 00000000842C: DD488000 00208806
	v_mfma_f32_16x16x16_bf16 a[168:171], a[148:149], v[72:73], a[168:171]// 000000008434: D3E180A8 0EA29194
	s_waitcnt lgkmcnt(6)                                       // 00000000843C: BF8CC67F
	s_barrier                                                  // 000000008440: BF8A0000
	v_mfma_f32_16x16x16_bf16 a[172:175], a[150:151], v[72:73], a[172:175]// 000000008444: D3E180AC 0EB29196
	v_mfma_f32_16x16x16_bf16 a[176:179], a[152:153], v[72:73], a[176:179]// 00000000844C: D3E180B0 0EC29198
	ds_read_b128 v[48:51], v19 offset:17408                    // 000000008454: D9FE4400 30000013
	v_mfma_f32_16x16x16_bf16 a[180:183], a[154:155], v[72:73], a[180:183]// 00000000845C: D3E180B4 0ED2919A
	v_mfma_f32_16x16x16_bf16 a[184:187], a[156:157], v[72:73], a[184:187]// 000000008464: D3E180B8 0EE2919C
	ds_read_b128 v[52:55], v19 offset:18560                    // 00000000846C: D9FE4880 34000013
	v_mfma_f32_16x16x16_bf16 a[188:191], a[158:159], v[72:73], a[188:191]// 000000008474: D3E180BC 0EF2919E
	global_atomic_pk_add_bf16 v8, v137, s[32:33]               // 00000000847C: DD488000 00208908
	v_mfma_f32_16x16x16_bf16 a[192:195], a[144:145], v[74:75], a[192:195]// 000000008484: D3E180C0 0F029590
	ds_read_b128 v[56:59], v19 offset:19712                    // 00000000848C: D9FE4D00 38000013
	v_mfma_f32_16x16x16_bf16 a[196:199], a[146:147], v[74:75], a[196:199]// 000000008494: D3E180C4 0F129592
	v_mfma_f32_16x16x16_bf16 a[200:203], a[148:149], v[74:75], a[200:203]// 00000000849C: D3E180C8 0F229594
	ds_read_b128 v[60:63], v19 offset:20864                    // 0000000084A4: D9FE5180 3C000013
	v_mfma_f32_16x16x16_bf16 a[204:207], a[150:151], v[74:75], a[204:207]// 0000000084AC: D3E180CC 0F329596
	v_mfma_f32_16x16x16_bf16 a[208:211], a[152:153], v[74:75], a[208:211]// 0000000084B4: D3E180D0 0F429598
	ds_read_b128 v[64:67], v19 offset:22016                    // 0000000084BC: D9FE5600 40000013
	v_mfma_f32_16x16x16_bf16 a[212:215], a[154:155], v[74:75], a[212:215]// 0000000084C4: D3E180D4 0F52959A
	global_atomic_pk_add_bf16 v6, v138, s[32:33] offset:128    // 0000000084CC: DD488080 00208A06
	v_mfma_f32_16x16x16_bf16 a[216:219], a[156:157], v[74:75], a[216:219]// 0000000084D4: D3E180D8 0F62959C
	ds_read_b128 v[68:71], v19 offset:23168                    // 0000000084DC: D9FE5A80 44000013
	v_mfma_f32_16x16x16_bf16 a[220:223], a[158:159], v[74:75], a[220:223]// 0000000084E4: D3E180DC 0F72959E
	v_mfma_f32_16x16x16_bf16 a[224:227], a[144:145], v[76:77], a[224:227]// 0000000084EC: D3E180E0 0F829990
	ds_write_b32 v15, v88 offset:13056                         // 0000000084F4: D81A3300 0000580F
	v_mfma_f32_16x16x16_bf16 a[228:231], a[146:147], v[76:77], a[228:231]// 0000000084FC: D3E180E4 0F929992
	v_mfma_f32_16x16x16_bf16 a[232:235], a[148:149], v[76:77], a[232:235]// 000000008504: D3E180E8 0FA29994
	ds_write_b32 v15, v89 offset:14112                         // 00000000850C: D81A3720 0000590F
	v_mfma_f32_16x16x16_bf16 a[236:239], a[150:151], v[76:77], a[236:239]// 000000008514: D3E180EC 0FB29996
	global_atomic_pk_add_bf16 v8, v139, s[32:33] offset:128    // 00000000851C: DD488080 00208B08
	v_mfma_f32_16x16x16_bf16 a[240:243], a[152:153], v[76:77], a[240:243]// 000000008524: D3E180F0 0FC29998
	ds_write_b32 v15, v90 offset:13184                         // 00000000852C: D81A3380 00005A0F
	v_mfma_f32_16x16x16_bf16 a[244:247], a[154:155], v[76:77], a[244:247]// 000000008534: D3E180F4 0FD2999A
	v_mfma_f32_16x16x16_bf16 a[248:251], a[156:157], v[76:77], a[248:251]// 00000000853C: D3E180F8 0FE2999C
	ds_write_b32 v15, v91 offset:14240                         // 000000008544: D81A37A0 00005B0F
	v_mfma_f32_16x16x16_bf16 a[252:255], a[158:159], v[76:77], a[252:255]// 00000000854C: D3E180FC 0FF2999E
	s_waitcnt vmcnt(4) lgkmcnt(4)                              // 000000008554: BF8C0474
	s_barrier                                                  // 000000008558: BF8A0000
	v_mfma_f32_16x16x16_bf16 v[128:131], a[48:49], v[48:49], 0 // 00000000855C: D3E10080 0A026130
	ds_read_b128 a[144:147], v12                               // 000000008564: DBFE0000 9000000C
	buffer_load_dword v32, v1, s[8:11], 0 idxen                // 00000000856C: E0502000 80022001
	v_mfma_f32_16x16x16_bf16 v[128:131], a[52:53], v[50:51], v[128:131]// 000000008574: D3E10080 0E026534
	v_mul_f32_e32 v124, s49, v124                              // 00000000857C: 0AF8F831
	s_nop 0                                                    // 000000008580: BF800000
	v_mfma_f32_16x16x16_bf16 v[128:131], a[56:57], v[52:53], v[128:131]// 000000008584: D3E10080 0E026938
	ds_read_b128 a[148:151], v12 offset:512                    // 00000000858C: DBFE0200 9400000C
	buffer_load_dword v33, v2, s[8:11], 0 idxen                // 000000008594: E0502000 80022102
	v_mfma_f32_16x16x16_bf16 v[128:131], a[60:61], v[54:55], v[128:131]// 00000000859C: D3E10080 0E026D3C
	v_mfma_f32_16x16x16_bf16 v[128:131], a[64:65], v[56:57], v[128:131]// 0000000085A4: D3E10080 0E027140
	ds_read_b128 a[152:155], v12 offset:2176                   // 0000000085AC: DBFE0880 9800000C
	buffer_load_dword v34, v3, s[8:11], 0 idxen                // 0000000085B4: E0502000 80022203
	v_mfma_f32_16x16x16_bf16 v[128:131], a[68:69], v[58:59], v[128:131]// 0000000085BC: D3E10080 0E027544
	v_perm_b32 v84, v37, v36, s63                              // 0000000085C4: D1ED0054 00FE4925
	v_perm_b32 v85, v37, v36, s64                              // 0000000085CC: D1ED0055 01024925
	v_mfma_f32_16x16x16_bf16 v[128:131], a[72:73], v[60:61], v[128:131]// 0000000085D4: D3E10080 0E027948
	ds_read_b128 a[156:159], v12 offset:2688                   // 0000000085DC: DBFE0A80 9C00000C
	buffer_load_dword v35, v4, s[8:11], 0 idxen                // 0000000085E4: E0502000 80022304
	v_mfma_f32_16x16x16_bf16 v[128:131], a[76:77], v[62:63], v[128:131]// 0000000085EC: D3E10080 0E027D4C
	v_perm_b32 v86, v39, v38, s63                              // 0000000085F4: D1ED0056 00FE4D27
	v_perm_b32 v87, v39, v38, s64                              // 0000000085FC: D1ED0057 01024D27
	v_mfma_f32_16x16x16_bf16 v[128:131], a[80:81], v[64:65], v[128:131]// 000000008604: D3E10080 0E028150
	ds_read_b128 v[92:95], v12 offset:8704                     // 00000000860C: D9FE2200 5C00000C
	buffer_load_dword v40, v1, s[20:23], 0 idxen               // 000000008614: E0502000 80052801
	v_mfma_f32_16x16x16_bf16 v[128:131], a[84:85], v[66:67], v[128:131]// 00000000861C: D3E10080 0E028554
	v_perm_b32 v88, v45, v44, s63                              // 000000008624: D1ED0058 00FE592D
	v_perm_b32 v89, v45, v44, s64                              // 00000000862C: D1ED0059 0102592D
	v_mfma_f32_16x16x16_bf16 v[128:131], a[88:89], v[68:69], v[128:131]// 000000008634: D3E10080 0E028958
	ds_read_b128 v[96:99], v12 offset:9216                     // 00000000863C: D9FE2400 6000000C
	buffer_load_dword v41, v2, s[20:23], 0 idxen               // 000000008644: E0502000 80052902
	v_mfma_f32_16x16x16_bf16 v[128:131], a[92:93], v[70:71], v[128:131]// 00000000864C: D3E10080 0E028D5C
	v_perm_b32 v90, v47, v46, s63                              // 000000008654: D1ED005A 00FE5D2F
	v_perm_b32 v91, v47, v46, s64                              // 00000000865C: D1ED005B 01025D2F
	v_mfma_f32_16x16x16_bf16 v[132:135], a[50:51], v[48:49], 0 // 000000008664: D3E10084 0A026132
	ds_read_b128 v[100:103], v12 offset:10880                  // 00000000866C: D9FE2A80 6400000C
	buffer_load_dword v42, v3, s[20:23], 0 idxen               // 000000008674: E0502000 80052A03
	v_mfma_f32_16x16x16_bf16 v[132:135], a[54:55], v[50:51], v[132:135]// 00000000867C: D3E10084 0E126536
	v_mov_b32_dpp v127, v124 quad_perm:[3,3,3,3] row_mask:0xf bank_mask:0xf// 000000008684: 7EFE02FA FF00FF7C
	v_mov_b32_dpp v126, v124 quad_perm:[2,2,2,2] row_mask:0xf bank_mask:0xf// 00000000868C: 7EFC02FA FF00AA7C
	v_mfma_f32_16x16x16_bf16 v[132:135], a[58:59], v[52:53], v[132:135]// 000000008694: D3E10084 0E12693A
	ds_read_b128 v[104:107], v12 offset:11392                  // 00000000869C: D9FE2C80 6800000C
	buffer_load_dword v43, v4, s[20:23], 0 idxen               // 0000000086A4: E0502000 80052B04
	v_mfma_f32_16x16x16_bf16 v[132:135], a[62:63], v[54:55], v[132:135]// 0000000086AC: D3E10084 0E126D3E
	v_mov_b32_dpp v125, v124 quad_perm:[1,1,1,1] row_mask:0xf bank_mask:0xf// 0000000086B4: 7EFA02FA FF00557C
	v_mov_b32_dpp v124, v124 quad_perm:[0,0,0,0] row_mask:0xf bank_mask:0xf// 0000000086BC: 7EF802FA FF00007C
	s_add_u32 s60, 64, s59                                     // 0000000086C4: 803C3BC0
	v_mfma_f32_16x16x16_bf16 v[132:135], a[66:67], v[56:57], v[132:135]// 0000000086C8: D3E10084 0E127142
	buffer_load_dword v11, s[24:27], 0 idxen lds               // 0000000086D0: E0512000 8006000B
	v_mfma_f32_16x16x16_bf16 v[132:135], a[70:71], v[58:59], v[132:135]// 0000000086D8: D3E10084 0E127546
	s_cmp_lt_u32 s60, s58                                      // 0000000086E0: BF0A3A3C
	s_cselect_b32 s68, s68, 0                                  // 0000000086E4: 85448044
	s_cselect_b32 s69, s69, 0                                  // 0000000086E8: 85458045
	v_mfma_f32_16x16x16_bf16 v[132:135], a[74:75], v[60:61], v[132:135]// 0000000086EC: D3E10084 0E12794A
	s_add_u32 s8, s68, s8                                      // 0000000086F4: 80080844
	s_addc_u32 s9, 0, s9                                       // 0000000086F8: 82090980
	v_mfma_f32_16x16x16_bf16 v[132:135], a[78:79], v[62:63], v[132:135]// 0000000086FC: D3E10084 0E127D4E
	s_add_u32 s20, s68, s20                                    // 000000008704: 80141444
	s_addc_u32 s21, 0, s21                                     // 000000008708: 82151580
	v_mfma_f32_16x16x16_bf16 v[132:135], a[82:83], v[64:65], v[132:135]// 00000000870C: D3E10084 0E128152
	s_mov_b32 m0, s81                                          // 000000008714: BEFC0051
	v_add_u32_e32 v11, s69, v11                                // 000000008718: 68161645
	v_mfma_f32_16x16x16_bf16 v[132:135], a[86:87], v[66:67], v[132:135]// 00000000871C: D3E10084 0E128556
	s_cmp_ge_u32 s59, s73                                      // 000000008724: BF09493B
	s_cselect_b32 s66, s67, s66                                // 000000008728: 85424243
	v_mfma_f32_16x16x16_bf16 v[132:135], a[90:91], v[68:69], v[132:135]// 00000000872C: D3E10084 0E12895A
	s_addk_i32 s59, 0x10                                       // 000000008734: B73B0010
	s_nop 0                                                    // 000000008738: BF800000
	s_cmp_lt_i32 s59, s58                                      // 00000000873C: BF043A3B
	v_mfma_f32_16x16x16_bf16 v[132:135], a[94:95], v[70:71], v[132:135]// 000000008740: D3E10084 0E128D5E
	s_cbranch_scc0 label_0CF8                                  // 000000008748: BF84FAA5
	s_branch label_0CFB                                        // 00000000874C: BF82FAA7

0000000000008750 <label_1254>:
	s_add_u32 s32, s66, s32                                    // 000000008750: 80202042
	s_addc_u32 s33, 0, s33                                     // 000000008754: 82212180
	v_lshrrev_b32_e32 v28, 5, v0                               // 000000008758: 20380085
	v_mul_i32_i24_e32 v27, 0x42, v28                           // 00000000875C: 0C3638FF 00000042
	v_and_b32_e32 v28, 31, v0                                  // 000000008764: 2638009F
	v_mul_i32_i24_e32 v29, 2, v28                              // 000000008768: 0C3A3882
	v_add_u32_e32 v27, v29, v27                                // 00000000876C: 6836371D
	s_mul_i32 s60, s47, 0x420                                  // 000000008770: 923CFF2F 00000420
	v_add_u32_e32 v27, s60, v27                                // 000000008778: 6836363C
	v_lshlrev_b32_e32 v27, 2, v27                              // 00000000877C: 24363682
	v_mul_f32_e32 v128, s48, v128                              // 000000008780: 0B010030
	v_mul_f32_e32 v129, s48, v129                              // 000000008784: 0B030230
	v_mul_f32_e32 v130, s48, v130                              // 000000008788: 0B050430
	v_mul_f32_e32 v131, s48, v131                              // 00000000878C: 0B070630
	v_mul_f32_e32 v132, s48, v132                              // 000000008790: 0B090830
	v_mul_f32_e32 v133, s48, v133                              // 000000008794: 0B0B0A30
	v_mul_f32_e32 v134, s48, v134                              // 000000008798: 0B0D0C30
	v_mul_f32_e32 v135, s48, v135                              // 00000000879C: 0B0F0E30
	v_perm_b32 v128, v129, v128, s64                           // 0000000087A0: D1ED0080 01030181
	v_perm_b32 v129, v131, v130, s64                           // 0000000087A8: D1ED0081 01030583
	v_perm_b32 v130, v133, v132, s64                           // 0000000087B0: D1ED0082 01030985
	v_perm_b32 v131, v135, v134, s64                           // 0000000087B8: D1ED0083 01030D87
	ds_write_b64 v22, v[128:129] offset:24320                  // 0000000087C0: D89A5F00 00008016
	ds_write_b64 v22, v[130:131] offset:24864                  // 0000000087C8: D89A6120 00008216
	s_waitcnt lgkmcnt(0)                                       // 0000000087D0: BF8CC07F
	s_barrier                                                  // 0000000087D4: BF8A0000
	ds_read_b32 v136, v21 offset:24320                         // 0000000087D8: D86C5F00 88000015
	ds_read_b32 v137, v21 offset:24336                         // 0000000087E0: D86C5F10 89000015
	ds_read_b32 v138, v21 offset:26496                         // 0000000087E8: D86C6780 8A000015
	ds_read_b32 v139, v21 offset:26512                         // 0000000087F0: D86C6790 8B000015
	s_waitcnt lgkmcnt(0)                                       // 0000000087F8: BF8CC07F
	s_barrier                                                  // 0000000087FC: BF8A0000
	global_atomic_pk_add_bf16 v6, v136, s[32:33]               // 000000008800: DD488000 00208806
	global_atomic_pk_add_bf16 v8, v137, s[32:33]               // 000000008808: DD488000 00208908
	global_atomic_pk_add_bf16 v6, v138, s[32:33] offset:128    // 000000008810: DD488080 00208A06
	global_atomic_pk_add_bf16 v8, v139, s[32:33] offset:128    // 000000008818: DD488080 00208B08
	v_lshrrev_b32_e32 v28, 4, v0                               // 000000008820: 20380084
	v_mul_i32_i24_e32 v26, 2, v28                              // 000000008824: 0C343882
	v_and_b32_e32 v28, 15, v0                                  // 000000008828: 2638008F
	v_mul_i32_i24_e32 v29, 0x42, v28                           // 00000000882C: 0C3A38FF 00000042
	v_add_u32_e32 v26, v29, v26                                // 000000008834: 6834351D
	s_mul_i32 s60, s47, 0x420                                  // 000000008838: 923CFF2F 00000420
	v_add_u32_e32 v26, s60, v26                                // 000000008840: 6834343C
	v_lshlrev_b32_e32 v26, 2, v26                              // 000000008844: 24343482
	v_accvgpr_read_b32 v30, a160                               // 000000008848: D3D8401E 180001A0
	v_accvgpr_read_b32 v31, a161                               // 000000008850: D3D8401F 180001A1
	v_mul_f32_e32 v30, s48, v30                                // 000000008858: 0A3C3C30
	v_mul_f32_e32 v31, s48, v31                                // 00000000885C: 0A3E3E30
	v_cmp_u_f32_e64 s[78:79], v30, v30                         // 000000008860: D048004E 00023D1E
	v_bfe_u32 v248, v30, 16, 1                                 // 000000008868: D1C800F8 0205211E
	v_add3_u32 v248, v30, v248, v251                           // 000000008870: D1FF00F8 07EFF11E
	v_cndmask_b32_e64 v28, v248, v250, s[78:79]                // 000000008878: D100001C 013BF5F8
	v_lshrrev_b32_e32 v28, 16, v28                             // 000000008880: 20383890
	v_cmp_u_f32_e64 s[78:79], v31, v31                         // 000000008884: D048004E 00023F1F
	v_bfe_u32 v248, v31, 16, 1                                 // 00000000888C: D1C800F8 0205211F
	v_add3_u32 v248, v31, v248, v251                           // 000000008894: D1FF00F8 07EFF11F
	v_cndmask_b32_e64 v29, v248, v250, s[78:79]                // 00000000889C: D100001D 013BF5F8
	v_and_or_b32 v48, v29, v249, v28                           // 0000000088A4: D2010030 0473F31D
	v_accvgpr_read_b32 v30, a162                               // 0000000088AC: D3D8401E 180001A2
	v_accvgpr_read_b32 v31, a163                               // 0000000088B4: D3D8401F 180001A3
	v_mul_f32_e32 v30, s48, v30                                // 0000000088BC: 0A3C3C30
	v_mul_f32_e32 v31, s48, v31                                // 0000000088C0: 0A3E3E30
	v_cmp_u_f32_e64 s[78:79], v30, v30                         // 0000000088C4: D048004E 00023D1E
	v_bfe_u32 v248, v30, 16, 1                                 // 0000000088CC: D1C800F8 0205211E
	v_add3_u32 v248, v30, v248, v251                           // 0000000088D4: D1FF00F8 07EFF11E
	v_cndmask_b32_e64 v28, v248, v250, s[78:79]                // 0000000088DC: D100001C 013BF5F8
	v_lshrrev_b32_e32 v28, 16, v28                             // 0000000088E4: 20383890
	v_cmp_u_f32_e64 s[78:79], v31, v31                         // 0000000088E8: D048004E 00023F1F
	v_bfe_u32 v248, v31, 16, 1                                 // 0000000088F0: D1C800F8 0205211F
	v_add3_u32 v248, v31, v248, v251                           // 0000000088F8: D1FF00F8 07EFF11F
	v_cndmask_b32_e64 v29, v248, v250, s[78:79]                // 000000008900: D100001D 013BF5F8
	v_and_or_b32 v49, v29, v249, v28                           // 000000008908: D2010031 0473F31D
	v_accvgpr_read_b32 v30, a164                               // 000000008910: D3D8401E 180001A4
	v_accvgpr_read_b32 v31, a165                               // 000000008918: D3D8401F 180001A5
	v_mul_f32_e32 v30, s48, v30                                // 000000008920: 0A3C3C30
	v_mul_f32_e32 v31, s48, v31                                // 000000008924: 0A3E3E30
	v_cmp_u_f32_e64 s[78:79], v30, v30                         // 000000008928: D048004E 00023D1E
	v_bfe_u32 v248, v30, 16, 1                                 // 000000008930: D1C800F8 0205211E
	v_add3_u32 v248, v30, v248, v251                           // 000000008938: D1FF00F8 07EFF11E
	v_cndmask_b32_e64 v28, v248, v250, s[78:79]                // 000000008940: D100001C 013BF5F8
	v_lshrrev_b32_e32 v28, 16, v28                             // 000000008948: 20383890
	v_cmp_u_f32_e64 s[78:79], v31, v31                         // 00000000894C: D048004E 00023F1F
	v_bfe_u32 v248, v31, 16, 1                                 // 000000008954: D1C800F8 0205211F
	v_add3_u32 v248, v31, v248, v251                           // 00000000895C: D1FF00F8 07EFF11F
	v_cndmask_b32_e64 v29, v248, v250, s[78:79]                // 000000008964: D100001D 013BF5F8
	v_and_or_b32 v50, v29, v249, v28                           // 00000000896C: D2010032 0473F31D
	v_accvgpr_read_b32 v30, a166                               // 000000008974: D3D8401E 180001A6
	v_accvgpr_read_b32 v31, a167                               // 00000000897C: D3D8401F 180001A7
	v_mul_f32_e32 v30, s48, v30                                // 000000008984: 0A3C3C30
	v_mul_f32_e32 v31, s48, v31                                // 000000008988: 0A3E3E30
	v_cmp_u_f32_e64 s[78:79], v30, v30                         // 00000000898C: D048004E 00023D1E
	v_bfe_u32 v248, v30, 16, 1                                 // 000000008994: D1C800F8 0205211E
	v_add3_u32 v248, v30, v248, v251                           // 00000000899C: D1FF00F8 07EFF11E
	v_cndmask_b32_e64 v28, v248, v250, s[78:79]                // 0000000089A4: D100001C 013BF5F8
	v_lshrrev_b32_e32 v28, 16, v28                             // 0000000089AC: 20383890
	v_cmp_u_f32_e64 s[78:79], v31, v31                         // 0000000089B0: D048004E 00023F1F
	v_bfe_u32 v248, v31, 16, 1                                 // 0000000089B8: D1C800F8 0205211F
	v_add3_u32 v248, v31, v248, v251                           // 0000000089C0: D1FF00F8 07EFF11F
	v_cndmask_b32_e64 v29, v248, v250, s[78:79]                // 0000000089C8: D100001D 013BF5F8
	v_and_or_b32 v51, v29, v249, v28                           // 0000000089D0: D2010033 0473F31D
	v_accvgpr_read_b32 v30, a168                               // 0000000089D8: D3D8401E 180001A8
	v_accvgpr_read_b32 v31, a169                               // 0000000089E0: D3D8401F 180001A9
	v_mul_f32_e32 v30, s48, v30                                // 0000000089E8: 0A3C3C30
	v_mul_f32_e32 v31, s48, v31                                // 0000000089EC: 0A3E3E30
	v_cmp_u_f32_e64 s[78:79], v30, v30                         // 0000000089F0: D048004E 00023D1E
	v_bfe_u32 v248, v30, 16, 1                                 // 0000000089F8: D1C800F8 0205211E
	v_add3_u32 v248, v30, v248, v251                           // 000000008A00: D1FF00F8 07EFF11E
	v_cndmask_b32_e64 v28, v248, v250, s[78:79]                // 000000008A08: D100001C 013BF5F8
	v_lshrrev_b32_e32 v28, 16, v28                             // 000000008A10: 20383890
	v_cmp_u_f32_e64 s[78:79], v31, v31                         // 000000008A14: D048004E 00023F1F
	v_bfe_u32 v248, v31, 16, 1                                 // 000000008A1C: D1C800F8 0205211F
	v_add3_u32 v248, v31, v248, v251                           // 000000008A24: D1FF00F8 07EFF11F
	v_cndmask_b32_e64 v29, v248, v250, s[78:79]                // 000000008A2C: D100001D 013BF5F8
	v_and_or_b32 v52, v29, v249, v28                           // 000000008A34: D2010034 0473F31D
	v_accvgpr_read_b32 v30, a170                               // 000000008A3C: D3D8401E 180001AA
	v_accvgpr_read_b32 v31, a171                               // 000000008A44: D3D8401F 180001AB
	v_mul_f32_e32 v30, s48, v30                                // 000000008A4C: 0A3C3C30
	v_mul_f32_e32 v31, s48, v31                                // 000000008A50: 0A3E3E30
	v_cmp_u_f32_e64 s[78:79], v30, v30                         // 000000008A54: D048004E 00023D1E
	v_bfe_u32 v248, v30, 16, 1                                 // 000000008A5C: D1C800F8 0205211E
	v_add3_u32 v248, v30, v248, v251                           // 000000008A64: D1FF00F8 07EFF11E
	v_cndmask_b32_e64 v28, v248, v250, s[78:79]                // 000000008A6C: D100001C 013BF5F8
	v_lshrrev_b32_e32 v28, 16, v28                             // 000000008A74: 20383890
	v_cmp_u_f32_e64 s[78:79], v31, v31                         // 000000008A78: D048004E 00023F1F
	v_bfe_u32 v248, v31, 16, 1                                 // 000000008A80: D1C800F8 0205211F
	v_add3_u32 v248, v31, v248, v251                           // 000000008A88: D1FF00F8 07EFF11F
	v_cndmask_b32_e64 v29, v248, v250, s[78:79]                // 000000008A90: D100001D 013BF5F8
	v_and_or_b32 v53, v29, v249, v28                           // 000000008A98: D2010035 0473F31D
	v_accvgpr_read_b32 v30, a172                               // 000000008AA0: D3D8401E 180001AC
	v_accvgpr_read_b32 v31, a173                               // 000000008AA8: D3D8401F 180001AD
	v_mul_f32_e32 v30, s48, v30                                // 000000008AB0: 0A3C3C30
	v_mul_f32_e32 v31, s48, v31                                // 000000008AB4: 0A3E3E30
	v_cmp_u_f32_e64 s[78:79], v30, v30                         // 000000008AB8: D048004E 00023D1E
	v_bfe_u32 v248, v30, 16, 1                                 // 000000008AC0: D1C800F8 0205211E
	v_add3_u32 v248, v30, v248, v251                           // 000000008AC8: D1FF00F8 07EFF11E
	v_cndmask_b32_e64 v28, v248, v250, s[78:79]                // 000000008AD0: D100001C 013BF5F8
	v_lshrrev_b32_e32 v28, 16, v28                             // 000000008AD8: 20383890
	v_cmp_u_f32_e64 s[78:79], v31, v31                         // 000000008ADC: D048004E 00023F1F
	v_bfe_u32 v248, v31, 16, 1                                 // 000000008AE4: D1C800F8 0205211F
	v_add3_u32 v248, v31, v248, v251                           // 000000008AEC: D1FF00F8 07EFF11F
	v_cndmask_b32_e64 v29, v248, v250, s[78:79]                // 000000008AF4: D100001D 013BF5F8
	v_and_or_b32 v54, v29, v249, v28                           // 000000008AFC: D2010036 0473F31D
	v_accvgpr_read_b32 v30, a174                               // 000000008B04: D3D8401E 180001AE
	v_accvgpr_read_b32 v31, a175                               // 000000008B0C: D3D8401F 180001AF
	v_mul_f32_e32 v30, s48, v30                                // 000000008B14: 0A3C3C30
	v_mul_f32_e32 v31, s48, v31                                // 000000008B18: 0A3E3E30
	v_cmp_u_f32_e64 s[78:79], v30, v30                         // 000000008B1C: D048004E 00023D1E
	v_bfe_u32 v248, v30, 16, 1                                 // 000000008B24: D1C800F8 0205211E
	v_add3_u32 v248, v30, v248, v251                           // 000000008B2C: D1FF00F8 07EFF11E
	v_cndmask_b32_e64 v28, v248, v250, s[78:79]                // 000000008B34: D100001C 013BF5F8
	v_lshrrev_b32_e32 v28, 16, v28                             // 000000008B3C: 20383890
	v_cmp_u_f32_e64 s[78:79], v31, v31                         // 000000008B40: D048004E 00023F1F
	v_bfe_u32 v248, v31, 16, 1                                 // 000000008B48: D1C800F8 0205211F
	v_add3_u32 v248, v31, v248, v251                           // 000000008B50: D1FF00F8 07EFF11F
	v_cndmask_b32_e64 v29, v248, v250, s[78:79]                // 000000008B58: D100001D 013BF5F8
	v_and_or_b32 v55, v29, v249, v28                           // 000000008B60: D2010037 0473F31D
	v_accvgpr_read_b32 v30, a176                               // 000000008B68: D3D8401E 180001B0
	v_accvgpr_read_b32 v31, a177                               // 000000008B70: D3D8401F 180001B1
	v_mul_f32_e32 v30, s48, v30                                // 000000008B78: 0A3C3C30
	v_mul_f32_e32 v31, s48, v31                                // 000000008B7C: 0A3E3E30
	v_cmp_u_f32_e64 s[78:79], v30, v30                         // 000000008B80: D048004E 00023D1E
	v_bfe_u32 v248, v30, 16, 1                                 // 000000008B88: D1C800F8 0205211E
	v_add3_u32 v248, v30, v248, v251                           // 000000008B90: D1FF00F8 07EFF11E
	v_cndmask_b32_e64 v28, v248, v250, s[78:79]                // 000000008B98: D100001C 013BF5F8
	v_lshrrev_b32_e32 v28, 16, v28                             // 000000008BA0: 20383890
	v_cmp_u_f32_e64 s[78:79], v31, v31                         // 000000008BA4: D048004E 00023F1F
	v_bfe_u32 v248, v31, 16, 1                                 // 000000008BAC: D1C800F8 0205211F
	v_add3_u32 v248, v31, v248, v251                           // 000000008BB4: D1FF00F8 07EFF11F
	v_cndmask_b32_e64 v29, v248, v250, s[78:79]                // 000000008BBC: D100001D 013BF5F8
	v_and_or_b32 v56, v29, v249, v28                           // 000000008BC4: D2010038 0473F31D
	v_accvgpr_read_b32 v30, a178                               // 000000008BCC: D3D8401E 180001B2
	v_accvgpr_read_b32 v31, a179                               // 000000008BD4: D3D8401F 180001B3
	v_mul_f32_e32 v30, s48, v30                                // 000000008BDC: 0A3C3C30
	v_mul_f32_e32 v31, s48, v31                                // 000000008BE0: 0A3E3E30
	v_cmp_u_f32_e64 s[78:79], v30, v30                         // 000000008BE4: D048004E 00023D1E
	v_bfe_u32 v248, v30, 16, 1                                 // 000000008BEC: D1C800F8 0205211E
	v_add3_u32 v248, v30, v248, v251                           // 000000008BF4: D1FF00F8 07EFF11E
	v_cndmask_b32_e64 v28, v248, v250, s[78:79]                // 000000008BFC: D100001C 013BF5F8
	v_lshrrev_b32_e32 v28, 16, v28                             // 000000008C04: 20383890
	v_cmp_u_f32_e64 s[78:79], v31, v31                         // 000000008C08: D048004E 00023F1F
	v_bfe_u32 v248, v31, 16, 1                                 // 000000008C10: D1C800F8 0205211F
	v_add3_u32 v248, v31, v248, v251                           // 000000008C18: D1FF00F8 07EFF11F
	v_cndmask_b32_e64 v29, v248, v250, s[78:79]                // 000000008C20: D100001D 013BF5F8
	v_and_or_b32 v57, v29, v249, v28                           // 000000008C28: D2010039 0473F31D
	v_accvgpr_read_b32 v30, a180                               // 000000008C30: D3D8401E 180001B4
	v_accvgpr_read_b32 v31, a181                               // 000000008C38: D3D8401F 180001B5
	v_mul_f32_e32 v30, s48, v30                                // 000000008C40: 0A3C3C30
	v_mul_f32_e32 v31, s48, v31                                // 000000008C44: 0A3E3E30
	v_cmp_u_f32_e64 s[78:79], v30, v30                         // 000000008C48: D048004E 00023D1E
	v_bfe_u32 v248, v30, 16, 1                                 // 000000008C50: D1C800F8 0205211E
	v_add3_u32 v248, v30, v248, v251                           // 000000008C58: D1FF00F8 07EFF11E
	v_cndmask_b32_e64 v28, v248, v250, s[78:79]                // 000000008C60: D100001C 013BF5F8
	v_lshrrev_b32_e32 v28, 16, v28                             // 000000008C68: 20383890
	v_cmp_u_f32_e64 s[78:79], v31, v31                         // 000000008C6C: D048004E 00023F1F
	v_bfe_u32 v248, v31, 16, 1                                 // 000000008C74: D1C800F8 0205211F
	v_add3_u32 v248, v31, v248, v251                           // 000000008C7C: D1FF00F8 07EFF11F
	v_cndmask_b32_e64 v29, v248, v250, s[78:79]                // 000000008C84: D100001D 013BF5F8
	v_and_or_b32 v58, v29, v249, v28                           // 000000008C8C: D201003A 0473F31D
	v_accvgpr_read_b32 v30, a182                               // 000000008C94: D3D8401E 180001B6
	v_accvgpr_read_b32 v31, a183                               // 000000008C9C: D3D8401F 180001B7
	v_mul_f32_e32 v30, s48, v30                                // 000000008CA4: 0A3C3C30
	v_mul_f32_e32 v31, s48, v31                                // 000000008CA8: 0A3E3E30
	v_cmp_u_f32_e64 s[78:79], v30, v30                         // 000000008CAC: D048004E 00023D1E
	v_bfe_u32 v248, v30, 16, 1                                 // 000000008CB4: D1C800F8 0205211E
	v_add3_u32 v248, v30, v248, v251                           // 000000008CBC: D1FF00F8 07EFF11E
	v_cndmask_b32_e64 v28, v248, v250, s[78:79]                // 000000008CC4: D100001C 013BF5F8
	v_lshrrev_b32_e32 v28, 16, v28                             // 000000008CCC: 20383890
	v_cmp_u_f32_e64 s[78:79], v31, v31                         // 000000008CD0: D048004E 00023F1F
	v_bfe_u32 v248, v31, 16, 1                                 // 000000008CD8: D1C800F8 0205211F
	v_add3_u32 v248, v31, v248, v251                           // 000000008CE0: D1FF00F8 07EFF11F
	v_cndmask_b32_e64 v29, v248, v250, s[78:79]                // 000000008CE8: D100001D 013BF5F8
	v_and_or_b32 v59, v29, v249, v28                           // 000000008CF0: D201003B 0473F31D
	v_accvgpr_read_b32 v30, a184                               // 000000008CF8: D3D8401E 180001B8
	v_accvgpr_read_b32 v31, a185                               // 000000008D00: D3D8401F 180001B9
	v_mul_f32_e32 v30, s48, v30                                // 000000008D08: 0A3C3C30
	v_mul_f32_e32 v31, s48, v31                                // 000000008D0C: 0A3E3E30
	v_cmp_u_f32_e64 s[78:79], v30, v30                         // 000000008D10: D048004E 00023D1E
	v_bfe_u32 v248, v30, 16, 1                                 // 000000008D18: D1C800F8 0205211E
	v_add3_u32 v248, v30, v248, v251                           // 000000008D20: D1FF00F8 07EFF11E
	v_cndmask_b32_e64 v28, v248, v250, s[78:79]                // 000000008D28: D100001C 013BF5F8
	v_lshrrev_b32_e32 v28, 16, v28                             // 000000008D30: 20383890
	v_cmp_u_f32_e64 s[78:79], v31, v31                         // 000000008D34: D048004E 00023F1F
	v_bfe_u32 v248, v31, 16, 1                                 // 000000008D3C: D1C800F8 0205211F
	v_add3_u32 v248, v31, v248, v251                           // 000000008D44: D1FF00F8 07EFF11F
	v_cndmask_b32_e64 v29, v248, v250, s[78:79]                // 000000008D4C: D100001D 013BF5F8
	v_and_or_b32 v60, v29, v249, v28                           // 000000008D54: D201003C 0473F31D
	v_accvgpr_read_b32 v30, a186                               // 000000008D5C: D3D8401E 180001BA
	v_accvgpr_read_b32 v31, a187                               // 000000008D64: D3D8401F 180001BB
	v_mul_f32_e32 v30, s48, v30                                // 000000008D6C: 0A3C3C30
	v_mul_f32_e32 v31, s48, v31                                // 000000008D70: 0A3E3E30
	v_cmp_u_f32_e64 s[78:79], v30, v30                         // 000000008D74: D048004E 00023D1E
	v_bfe_u32 v248, v30, 16, 1                                 // 000000008D7C: D1C800F8 0205211E
	v_add3_u32 v248, v30, v248, v251                           // 000000008D84: D1FF00F8 07EFF11E
	v_cndmask_b32_e64 v28, v248, v250, s[78:79]                // 000000008D8C: D100001C 013BF5F8
	v_lshrrev_b32_e32 v28, 16, v28                             // 000000008D94: 20383890
	v_cmp_u_f32_e64 s[78:79], v31, v31                         // 000000008D98: D048004E 00023F1F
	v_bfe_u32 v248, v31, 16, 1                                 // 000000008DA0: D1C800F8 0205211F
	v_add3_u32 v248, v31, v248, v251                           // 000000008DA8: D1FF00F8 07EFF11F
	v_cndmask_b32_e64 v29, v248, v250, s[78:79]                // 000000008DB0: D100001D 013BF5F8
	v_and_or_b32 v61, v29, v249, v28                           // 000000008DB8: D201003D 0473F31D
	v_accvgpr_read_b32 v30, a188                               // 000000008DC0: D3D8401E 180001BC
	v_accvgpr_read_b32 v31, a189                               // 000000008DC8: D3D8401F 180001BD
	v_mul_f32_e32 v30, s48, v30                                // 000000008DD0: 0A3C3C30
	v_mul_f32_e32 v31, s48, v31                                // 000000008DD4: 0A3E3E30
	v_cmp_u_f32_e64 s[78:79], v30, v30                         // 000000008DD8: D048004E 00023D1E
	v_bfe_u32 v248, v30, 16, 1                                 // 000000008DE0: D1C800F8 0205211E
	v_add3_u32 v248, v30, v248, v251                           // 000000008DE8: D1FF00F8 07EFF11E
	v_cndmask_b32_e64 v28, v248, v250, s[78:79]                // 000000008DF0: D100001C 013BF5F8
	v_lshrrev_b32_e32 v28, 16, v28                             // 000000008DF8: 20383890
	v_cmp_u_f32_e64 s[78:79], v31, v31                         // 000000008DFC: D048004E 00023F1F
	v_bfe_u32 v248, v31, 16, 1                                 // 000000008E04: D1C800F8 0205211F
	v_add3_u32 v248, v31, v248, v251                           // 000000008E0C: D1FF00F8 07EFF11F
	v_cndmask_b32_e64 v29, v248, v250, s[78:79]                // 000000008E14: D100001D 013BF5F8
	v_and_or_b32 v62, v29, v249, v28                           // 000000008E1C: D201003E 0473F31D
	v_accvgpr_read_b32 v30, a190                               // 000000008E24: D3D8401E 180001BE
	v_accvgpr_read_b32 v31, a191                               // 000000008E2C: D3D8401F 180001BF
	v_mul_f32_e32 v30, s48, v30                                // 000000008E34: 0A3C3C30
	v_mul_f32_e32 v31, s48, v31                                // 000000008E38: 0A3E3E30
	v_cmp_u_f32_e64 s[78:79], v30, v30                         // 000000008E3C: D048004E 00023D1E
	v_bfe_u32 v248, v30, 16, 1                                 // 000000008E44: D1C800F8 0205211E
	v_add3_u32 v248, v30, v248, v251                           // 000000008E4C: D1FF00F8 07EFF11E
	v_cndmask_b32_e64 v28, v248, v250, s[78:79]                // 000000008E54: D100001C 013BF5F8
	v_lshrrev_b32_e32 v28, 16, v28                             // 000000008E5C: 20383890
	v_cmp_u_f32_e64 s[78:79], v31, v31                         // 000000008E60: D048004E 00023F1F
	v_bfe_u32 v248, v31, 16, 1                                 // 000000008E68: D1C800F8 0205211F
	v_add3_u32 v248, v31, v248, v251                           // 000000008E70: D1FF00F8 07EFF11F
	v_cndmask_b32_e64 v29, v248, v250, s[78:79]                // 000000008E78: D100001D 013BF5F8
	v_and_or_b32 v63, v29, v249, v28                           // 000000008E80: D201003F 0473F31D
	ds_write_b64 v27, v[48:49]                                 // 000000008E88: D89A0000 0000301B
	ds_write_b64 v27, v[50:51] offset:528                      // 000000008E90: D89A0210 0000321B
	ds_write_b64 v27, v[52:53] offset:1056                     // 000000008E98: D89A0420 0000341B
	ds_write_b64 v27, v[54:55] offset:1584                     // 000000008EA0: D89A0630 0000361B
	ds_write_b64 v27, v[56:57] offset:2112                     // 000000008EA8: D89A0840 0000381B
	ds_write_b64 v27, v[58:59] offset:2640                     // 000000008EB0: D89A0A50 00003A1B
	ds_write_b64 v27, v[60:61] offset:3168                     // 000000008EB8: D89A0C60 00003C1B
	ds_write_b64 v27, v[62:63] offset:3696                     // 000000008EC0: D89A0E70 00003E1B
	s_waitcnt lgkmcnt(0)                                       // 000000008EC8: BF8CC07F
	s_barrier                                                  // 000000008ECC: BF8A0000
	ds_read_b64 v[48:49], v26                                  // 000000008ED0: D8EC0000 3000001A
	ds_read_b64 v[50:51], v26 offset:128                       // 000000008ED8: D8EC0080 3200001A
	ds_read_b64 v[52:53], v26 offset:32                        // 000000008EE0: D8EC0020 3400001A
	ds_read_b64 v[54:55], v26 offset:160                       // 000000008EE8: D8EC00A0 3600001A
	ds_read_b64 v[56:57], v26 offset:64                        // 000000008EF0: D8EC0040 3800001A
	ds_read_b64 v[58:59], v26 offset:192                       // 000000008EF8: D8EC00C0 3A00001A
	ds_read_b64 v[60:61], v26 offset:96                        // 000000008F00: D8EC0060 3C00001A
	ds_read_b64 v[62:63], v26 offset:224                       // 000000008F08: D8EC00E0 3E00001A
	s_waitcnt lgkmcnt(0)                                       // 000000008F10: BF8CC07F
	buffer_store_dwordx4 v[48:51], v5, s[36:39], 0 idxen       // 000000008F14: E07C2000 80093005
	v_add_u32_e32 v5, s46, v5                                  // 000000008F1C: 680A0A2E
	buffer_store_dwordx4 v[52:55], v5, s[36:39], 0 idxen       // 000000008F20: E07C2000 80093405
	v_add_u32_e32 v5, s46, v5                                  // 000000008F28: 680A0A2E
	buffer_store_dwordx4 v[56:59], v5, s[36:39], 0 idxen       // 000000008F2C: E07C2000 80093805
	v_add_u32_e32 v5, s46, v5                                  // 000000008F34: 680A0A2E
	buffer_store_dwordx4 v[60:63], v5, s[36:39], 0 idxen       // 000000008F38: E07C2000 80093C05
	v_add_u32_e32 v5, s46, v5                                  // 000000008F40: 680A0A2E
	s_mul_i32 s60, 12, s46                                     // 000000008F44: 923C2E8C
	v_add_u32_e32 v5, s60, v5                                  // 000000008F48: 680A0A3C
	s_barrier                                                  // 000000008F4C: BF8A0000
	s_cmp_ge_i32 1, s72                                        // 000000008F50: BF034881
	s_cbranch_scc1 label_17DE                                  // 000000008F54: BF850388
	v_accvgpr_read_b32 v30, a192                               // 000000008F58: D3D8401E 180001C0
	v_accvgpr_read_b32 v31, a193                               // 000000008F60: D3D8401F 180001C1
	v_mul_f32_e32 v30, s48, v30                                // 000000008F68: 0A3C3C30
	v_mul_f32_e32 v31, s48, v31                                // 000000008F6C: 0A3E3E30
	v_cmp_u_f32_e64 s[78:79], v30, v30                         // 000000008F70: D048004E 00023D1E
	v_bfe_u32 v248, v30, 16, 1                                 // 000000008F78: D1C800F8 0205211E
	v_add3_u32 v248, v30, v248, v251                           // 000000008F80: D1FF00F8 07EFF11E
	v_cndmask_b32_e64 v28, v248, v250, s[78:79]                // 000000008F88: D100001C 013BF5F8
	v_lshrrev_b32_e32 v28, 16, v28                             // 000000008F90: 20383890
	v_cmp_u_f32_e64 s[78:79], v31, v31                         // 000000008F94: D048004E 00023F1F
	v_bfe_u32 v248, v31, 16, 1                                 // 000000008F9C: D1C800F8 0205211F
	v_add3_u32 v248, v31, v248, v251                           // 000000008FA4: D1FF00F8 07EFF11F
	v_cndmask_b32_e64 v29, v248, v250, s[78:79]                // 000000008FAC: D100001D 013BF5F8
	v_and_or_b32 v64, v29, v249, v28                           // 000000008FB4: D2010040 0473F31D
	v_accvgpr_read_b32 v30, a194                               // 000000008FBC: D3D8401E 180001C2
	v_accvgpr_read_b32 v31, a195                               // 000000008FC4: D3D8401F 180001C3
	v_mul_f32_e32 v30, s48, v30                                // 000000008FCC: 0A3C3C30
	v_mul_f32_e32 v31, s48, v31                                // 000000008FD0: 0A3E3E30
	v_cmp_u_f32_e64 s[78:79], v30, v30                         // 000000008FD4: D048004E 00023D1E
	v_bfe_u32 v248, v30, 16, 1                                 // 000000008FDC: D1C800F8 0205211E
	v_add3_u32 v248, v30, v248, v251                           // 000000008FE4: D1FF00F8 07EFF11E
	v_cndmask_b32_e64 v28, v248, v250, s[78:79]                // 000000008FEC: D100001C 013BF5F8
	v_lshrrev_b32_e32 v28, 16, v28                             // 000000008FF4: 20383890
	v_cmp_u_f32_e64 s[78:79], v31, v31                         // 000000008FF8: D048004E 00023F1F
	v_bfe_u32 v248, v31, 16, 1                                 // 000000009000: D1C800F8 0205211F
	v_add3_u32 v248, v31, v248, v251                           // 000000009008: D1FF00F8 07EFF11F
	v_cndmask_b32_e64 v29, v248, v250, s[78:79]                // 000000009010: D100001D 013BF5F8
	v_and_or_b32 v65, v29, v249, v28                           // 000000009018: D2010041 0473F31D
	v_accvgpr_read_b32 v30, a196                               // 000000009020: D3D8401E 180001C4
	v_accvgpr_read_b32 v31, a197                               // 000000009028: D3D8401F 180001C5
	v_mul_f32_e32 v30, s48, v30                                // 000000009030: 0A3C3C30
	v_mul_f32_e32 v31, s48, v31                                // 000000009034: 0A3E3E30
	v_cmp_u_f32_e64 s[78:79], v30, v30                         // 000000009038: D048004E 00023D1E
	v_bfe_u32 v248, v30, 16, 1                                 // 000000009040: D1C800F8 0205211E
	v_add3_u32 v248, v30, v248, v251                           // 000000009048: D1FF00F8 07EFF11E
	v_cndmask_b32_e64 v28, v248, v250, s[78:79]                // 000000009050: D100001C 013BF5F8
	v_lshrrev_b32_e32 v28, 16, v28                             // 000000009058: 20383890
	v_cmp_u_f32_e64 s[78:79], v31, v31                         // 00000000905C: D048004E 00023F1F
	v_bfe_u32 v248, v31, 16, 1                                 // 000000009064: D1C800F8 0205211F
	v_add3_u32 v248, v31, v248, v251                           // 00000000906C: D1FF00F8 07EFF11F
	v_cndmask_b32_e64 v29, v248, v250, s[78:79]                // 000000009074: D100001D 013BF5F8
	v_and_or_b32 v66, v29, v249, v28                           // 00000000907C: D2010042 0473F31D
	v_accvgpr_read_b32 v30, a198                               // 000000009084: D3D8401E 180001C6
	v_accvgpr_read_b32 v31, a199                               // 00000000908C: D3D8401F 180001C7
	v_mul_f32_e32 v30, s48, v30                                // 000000009094: 0A3C3C30
	v_mul_f32_e32 v31, s48, v31                                // 000000009098: 0A3E3E30
	v_cmp_u_f32_e64 s[78:79], v30, v30                         // 00000000909C: D048004E 00023D1E
	v_bfe_u32 v248, v30, 16, 1                                 // 0000000090A4: D1C800F8 0205211E
	v_add3_u32 v248, v30, v248, v251                           // 0000000090AC: D1FF00F8 07EFF11E
	v_cndmask_b32_e64 v28, v248, v250, s[78:79]                // 0000000090B4: D100001C 013BF5F8
	v_lshrrev_b32_e32 v28, 16, v28                             // 0000000090BC: 20383890
	v_cmp_u_f32_e64 s[78:79], v31, v31                         // 0000000090C0: D048004E 00023F1F
	v_bfe_u32 v248, v31, 16, 1                                 // 0000000090C8: D1C800F8 0205211F
	v_add3_u32 v248, v31, v248, v251                           // 0000000090D0: D1FF00F8 07EFF11F
	v_cndmask_b32_e64 v29, v248, v250, s[78:79]                // 0000000090D8: D100001D 013BF5F8
	v_and_or_b32 v67, v29, v249, v28                           // 0000000090E0: D2010043 0473F31D
	v_accvgpr_read_b32 v30, a200                               // 0000000090E8: D3D8401E 180001C8
	v_accvgpr_read_b32 v31, a201                               // 0000000090F0: D3D8401F 180001C9
	v_mul_f32_e32 v30, s48, v30                                // 0000000090F8: 0A3C3C30
	v_mul_f32_e32 v31, s48, v31                                // 0000000090FC: 0A3E3E30
	v_cmp_u_f32_e64 s[78:79], v30, v30                         // 000000009100: D048004E 00023D1E
	v_bfe_u32 v248, v30, 16, 1                                 // 000000009108: D1C800F8 0205211E
	v_add3_u32 v248, v30, v248, v251                           // 000000009110: D1FF00F8 07EFF11E
	v_cndmask_b32_e64 v28, v248, v250, s[78:79]                // 000000009118: D100001C 013BF5F8
	v_lshrrev_b32_e32 v28, 16, v28                             // 000000009120: 20383890
	v_cmp_u_f32_e64 s[78:79], v31, v31                         // 000000009124: D048004E 00023F1F
	v_bfe_u32 v248, v31, 16, 1                                 // 00000000912C: D1C800F8 0205211F
	v_add3_u32 v248, v31, v248, v251                           // 000000009134: D1FF00F8 07EFF11F
	v_cndmask_b32_e64 v29, v248, v250, s[78:79]                // 00000000913C: D100001D 013BF5F8
	v_and_or_b32 v68, v29, v249, v28                           // 000000009144: D2010044 0473F31D
	v_accvgpr_read_b32 v30, a202                               // 00000000914C: D3D8401E 180001CA
	v_accvgpr_read_b32 v31, a203                               // 000000009154: D3D8401F 180001CB
	v_mul_f32_e32 v30, s48, v30                                // 00000000915C: 0A3C3C30
	v_mul_f32_e32 v31, s48, v31                                // 000000009160: 0A3E3E30
	v_cmp_u_f32_e64 s[78:79], v30, v30                         // 000000009164: D048004E 00023D1E
	v_bfe_u32 v248, v30, 16, 1                                 // 00000000916C: D1C800F8 0205211E
	v_add3_u32 v248, v30, v248, v251                           // 000000009174: D1FF00F8 07EFF11E
	v_cndmask_b32_e64 v28, v248, v250, s[78:79]                // 00000000917C: D100001C 013BF5F8
	v_lshrrev_b32_e32 v28, 16, v28                             // 000000009184: 20383890
	v_cmp_u_f32_e64 s[78:79], v31, v31                         // 000000009188: D048004E 00023F1F
	v_bfe_u32 v248, v31, 16, 1                                 // 000000009190: D1C800F8 0205211F
	v_add3_u32 v248, v31, v248, v251                           // 000000009198: D1FF00F8 07EFF11F
	v_cndmask_b32_e64 v29, v248, v250, s[78:79]                // 0000000091A0: D100001D 013BF5F8
	v_and_or_b32 v69, v29, v249, v28                           // 0000000091A8: D2010045 0473F31D
	v_accvgpr_read_b32 v30, a204                               // 0000000091B0: D3D8401E 180001CC
	v_accvgpr_read_b32 v31, a205                               // 0000000091B8: D3D8401F 180001CD
	v_mul_f32_e32 v30, s48, v30                                // 0000000091C0: 0A3C3C30
	v_mul_f32_e32 v31, s48, v31                                // 0000000091C4: 0A3E3E30
	v_cmp_u_f32_e64 s[78:79], v30, v30                         // 0000000091C8: D048004E 00023D1E
	v_bfe_u32 v248, v30, 16, 1                                 // 0000000091D0: D1C800F8 0205211E
	v_add3_u32 v248, v30, v248, v251                           // 0000000091D8: D1FF00F8 07EFF11E
	v_cndmask_b32_e64 v28, v248, v250, s[78:79]                // 0000000091E0: D100001C 013BF5F8
	v_lshrrev_b32_e32 v28, 16, v28                             // 0000000091E8: 20383890
	v_cmp_u_f32_e64 s[78:79], v31, v31                         // 0000000091EC: D048004E 00023F1F
	v_bfe_u32 v248, v31, 16, 1                                 // 0000000091F4: D1C800F8 0205211F
	v_add3_u32 v248, v31, v248, v251                           // 0000000091FC: D1FF00F8 07EFF11F
	v_cndmask_b32_e64 v29, v248, v250, s[78:79]                // 000000009204: D100001D 013BF5F8
	v_and_or_b32 v70, v29, v249, v28                           // 00000000920C: D2010046 0473F31D
	v_accvgpr_read_b32 v30, a206                               // 000000009214: D3D8401E 180001CE
	v_accvgpr_read_b32 v31, a207                               // 00000000921C: D3D8401F 180001CF
	v_mul_f32_e32 v30, s48, v30                                // 000000009224: 0A3C3C30
	v_mul_f32_e32 v31, s48, v31                                // 000000009228: 0A3E3E30
	v_cmp_u_f32_e64 s[78:79], v30, v30                         // 00000000922C: D048004E 00023D1E
	v_bfe_u32 v248, v30, 16, 1                                 // 000000009234: D1C800F8 0205211E
	v_add3_u32 v248, v30, v248, v251                           // 00000000923C: D1FF00F8 07EFF11E
	v_cndmask_b32_e64 v28, v248, v250, s[78:79]                // 000000009244: D100001C 013BF5F8
	v_lshrrev_b32_e32 v28, 16, v28                             // 00000000924C: 20383890
	v_cmp_u_f32_e64 s[78:79], v31, v31                         // 000000009250: D048004E 00023F1F
	v_bfe_u32 v248, v31, 16, 1                                 // 000000009258: D1C800F8 0205211F
	v_add3_u32 v248, v31, v248, v251                           // 000000009260: D1FF00F8 07EFF11F
	v_cndmask_b32_e64 v29, v248, v250, s[78:79]                // 000000009268: D100001D 013BF5F8
	v_and_or_b32 v71, v29, v249, v28                           // 000000009270: D2010047 0473F31D
	v_accvgpr_read_b32 v30, a208                               // 000000009278: D3D8401E 180001D0
	v_accvgpr_read_b32 v31, a209                               // 000000009280: D3D8401F 180001D1
	v_mul_f32_e32 v30, s48, v30                                // 000000009288: 0A3C3C30
	v_mul_f32_e32 v31, s48, v31                                // 00000000928C: 0A3E3E30
	v_cmp_u_f32_e64 s[78:79], v30, v30                         // 000000009290: D048004E 00023D1E
	v_bfe_u32 v248, v30, 16, 1                                 // 000000009298: D1C800F8 0205211E
	v_add3_u32 v248, v30, v248, v251                           // 0000000092A0: D1FF00F8 07EFF11E
	v_cndmask_b32_e64 v28, v248, v250, s[78:79]                // 0000000092A8: D100001C 013BF5F8
	v_lshrrev_b32_e32 v28, 16, v28                             // 0000000092B0: 20383890
	v_cmp_u_f32_e64 s[78:79], v31, v31                         // 0000000092B4: D048004E 00023F1F
	v_bfe_u32 v248, v31, 16, 1                                 // 0000000092BC: D1C800F8 0205211F
	v_add3_u32 v248, v31, v248, v251                           // 0000000092C4: D1FF00F8 07EFF11F
	v_cndmask_b32_e64 v29, v248, v250, s[78:79]                // 0000000092CC: D100001D 013BF5F8
	v_and_or_b32 v72, v29, v249, v28                           // 0000000092D4: D2010048 0473F31D
	v_accvgpr_read_b32 v30, a210                               // 0000000092DC: D3D8401E 180001D2
	v_accvgpr_read_b32 v31, a211                               // 0000000092E4: D3D8401F 180001D3
	v_mul_f32_e32 v30, s48, v30                                // 0000000092EC: 0A3C3C30
	v_mul_f32_e32 v31, s48, v31                                // 0000000092F0: 0A3E3E30
	v_cmp_u_f32_e64 s[78:79], v30, v30                         // 0000000092F4: D048004E 00023D1E
	v_bfe_u32 v248, v30, 16, 1                                 // 0000000092FC: D1C800F8 0205211E
	v_add3_u32 v248, v30, v248, v251                           // 000000009304: D1FF00F8 07EFF11E
	v_cndmask_b32_e64 v28, v248, v250, s[78:79]                // 00000000930C: D100001C 013BF5F8
	v_lshrrev_b32_e32 v28, 16, v28                             // 000000009314: 20383890
	v_cmp_u_f32_e64 s[78:79], v31, v31                         // 000000009318: D048004E 00023F1F
	v_bfe_u32 v248, v31, 16, 1                                 // 000000009320: D1C800F8 0205211F
	v_add3_u32 v248, v31, v248, v251                           // 000000009328: D1FF00F8 07EFF11F
	v_cndmask_b32_e64 v29, v248, v250, s[78:79]                // 000000009330: D100001D 013BF5F8
	v_and_or_b32 v73, v29, v249, v28                           // 000000009338: D2010049 0473F31D
	v_accvgpr_read_b32 v30, a212                               // 000000009340: D3D8401E 180001D4
	v_accvgpr_read_b32 v31, a213                               // 000000009348: D3D8401F 180001D5
	v_mul_f32_e32 v30, s48, v30                                // 000000009350: 0A3C3C30
	v_mul_f32_e32 v31, s48, v31                                // 000000009354: 0A3E3E30
	v_cmp_u_f32_e64 s[78:79], v30, v30                         // 000000009358: D048004E 00023D1E
	v_bfe_u32 v248, v30, 16, 1                                 // 000000009360: D1C800F8 0205211E
	v_add3_u32 v248, v30, v248, v251                           // 000000009368: D1FF00F8 07EFF11E
	v_cndmask_b32_e64 v28, v248, v250, s[78:79]                // 000000009370: D100001C 013BF5F8
	v_lshrrev_b32_e32 v28, 16, v28                             // 000000009378: 20383890
	v_cmp_u_f32_e64 s[78:79], v31, v31                         // 00000000937C: D048004E 00023F1F
	v_bfe_u32 v248, v31, 16, 1                                 // 000000009384: D1C800F8 0205211F
	v_add3_u32 v248, v31, v248, v251                           // 00000000938C: D1FF00F8 07EFF11F
	v_cndmask_b32_e64 v29, v248, v250, s[78:79]                // 000000009394: D100001D 013BF5F8
	v_and_or_b32 v74, v29, v249, v28                           // 00000000939C: D201004A 0473F31D
	v_accvgpr_read_b32 v30, a214                               // 0000000093A4: D3D8401E 180001D6
	v_accvgpr_read_b32 v31, a215                               // 0000000093AC: D3D8401F 180001D7
	v_mul_f32_e32 v30, s48, v30                                // 0000000093B4: 0A3C3C30
	v_mul_f32_e32 v31, s48, v31                                // 0000000093B8: 0A3E3E30
	v_cmp_u_f32_e64 s[78:79], v30, v30                         // 0000000093BC: D048004E 00023D1E
	v_bfe_u32 v248, v30, 16, 1                                 // 0000000093C4: D1C800F8 0205211E
	v_add3_u32 v248, v30, v248, v251                           // 0000000093CC: D1FF00F8 07EFF11E
	v_cndmask_b32_e64 v28, v248, v250, s[78:79]                // 0000000093D4: D100001C 013BF5F8
	v_lshrrev_b32_e32 v28, 16, v28                             // 0000000093DC: 20383890
	v_cmp_u_f32_e64 s[78:79], v31, v31                         // 0000000093E0: D048004E 00023F1F
	v_bfe_u32 v248, v31, 16, 1                                 // 0000000093E8: D1C800F8 0205211F
	v_add3_u32 v248, v31, v248, v251                           // 0000000093F0: D1FF00F8 07EFF11F
	v_cndmask_b32_e64 v29, v248, v250, s[78:79]                // 0000000093F8: D100001D 013BF5F8
	v_and_or_b32 v75, v29, v249, v28                           // 000000009400: D201004B 0473F31D
	v_accvgpr_read_b32 v30, a216                               // 000000009408: D3D8401E 180001D8
	v_accvgpr_read_b32 v31, a217                               // 000000009410: D3D8401F 180001D9
	v_mul_f32_e32 v30, s48, v30                                // 000000009418: 0A3C3C30
	v_mul_f32_e32 v31, s48, v31                                // 00000000941C: 0A3E3E30
	v_cmp_u_f32_e64 s[78:79], v30, v30                         // 000000009420: D048004E 00023D1E
	v_bfe_u32 v248, v30, 16, 1                                 // 000000009428: D1C800F8 0205211E
	v_add3_u32 v248, v30, v248, v251                           // 000000009430: D1FF00F8 07EFF11E
	v_cndmask_b32_e64 v28, v248, v250, s[78:79]                // 000000009438: D100001C 013BF5F8
	v_lshrrev_b32_e32 v28, 16, v28                             // 000000009440: 20383890
	v_cmp_u_f32_e64 s[78:79], v31, v31                         // 000000009444: D048004E 00023F1F
	v_bfe_u32 v248, v31, 16, 1                                 // 00000000944C: D1C800F8 0205211F
	v_add3_u32 v248, v31, v248, v251                           // 000000009454: D1FF00F8 07EFF11F
	v_cndmask_b32_e64 v29, v248, v250, s[78:79]                // 00000000945C: D100001D 013BF5F8
	v_and_or_b32 v76, v29, v249, v28                           // 000000009464: D201004C 0473F31D
	v_accvgpr_read_b32 v30, a218                               // 00000000946C: D3D8401E 180001DA
	v_accvgpr_read_b32 v31, a219                               // 000000009474: D3D8401F 180001DB
	v_mul_f32_e32 v30, s48, v30                                // 00000000947C: 0A3C3C30
	v_mul_f32_e32 v31, s48, v31                                // 000000009480: 0A3E3E30
	v_cmp_u_f32_e64 s[78:79], v30, v30                         // 000000009484: D048004E 00023D1E
	v_bfe_u32 v248, v30, 16, 1                                 // 00000000948C: D1C800F8 0205211E
	v_add3_u32 v248, v30, v248, v251                           // 000000009494: D1FF00F8 07EFF11E
	v_cndmask_b32_e64 v28, v248, v250, s[78:79]                // 00000000949C: D100001C 013BF5F8
	v_lshrrev_b32_e32 v28, 16, v28                             // 0000000094A4: 20383890
	v_cmp_u_f32_e64 s[78:79], v31, v31                         // 0000000094A8: D048004E 00023F1F
	v_bfe_u32 v248, v31, 16, 1                                 // 0000000094B0: D1C800F8 0205211F
	v_add3_u32 v248, v31, v248, v251                           // 0000000094B8: D1FF00F8 07EFF11F
	v_cndmask_b32_e64 v29, v248, v250, s[78:79]                // 0000000094C0: D100001D 013BF5F8
	v_and_or_b32 v77, v29, v249, v28                           // 0000000094C8: D201004D 0473F31D
	v_accvgpr_read_b32 v30, a220                               // 0000000094D0: D3D8401E 180001DC
	v_accvgpr_read_b32 v31, a221                               // 0000000094D8: D3D8401F 180001DD
	v_mul_f32_e32 v30, s48, v30                                // 0000000094E0: 0A3C3C30
	v_mul_f32_e32 v31, s48, v31                                // 0000000094E4: 0A3E3E30
	v_cmp_u_f32_e64 s[78:79], v30, v30                         // 0000000094E8: D048004E 00023D1E
	v_bfe_u32 v248, v30, 16, 1                                 // 0000000094F0: D1C800F8 0205211E
	v_add3_u32 v248, v30, v248, v251                           // 0000000094F8: D1FF00F8 07EFF11E
	v_cndmask_b32_e64 v28, v248, v250, s[78:79]                // 000000009500: D100001C 013BF5F8
	v_lshrrev_b32_e32 v28, 16, v28                             // 000000009508: 20383890
	v_cmp_u_f32_e64 s[78:79], v31, v31                         // 00000000950C: D048004E 00023F1F
	v_bfe_u32 v248, v31, 16, 1                                 // 000000009514: D1C800F8 0205211F
	v_add3_u32 v248, v31, v248, v251                           // 00000000951C: D1FF00F8 07EFF11F
	v_cndmask_b32_e64 v29, v248, v250, s[78:79]                // 000000009524: D100001D 013BF5F8
	v_and_or_b32 v78, v29, v249, v28                           // 00000000952C: D201004E 0473F31D
	v_accvgpr_read_b32 v30, a222                               // 000000009534: D3D8401E 180001DE
	v_accvgpr_read_b32 v31, a223                               // 00000000953C: D3D8401F 180001DF
	v_mul_f32_e32 v30, s48, v30                                // 000000009544: 0A3C3C30
	v_mul_f32_e32 v31, s48, v31                                // 000000009548: 0A3E3E30
	v_cmp_u_f32_e64 s[78:79], v30, v30                         // 00000000954C: D048004E 00023D1E
	v_bfe_u32 v248, v30, 16, 1                                 // 000000009554: D1C800F8 0205211E
	v_add3_u32 v248, v30, v248, v251                           // 00000000955C: D1FF00F8 07EFF11E
	v_cndmask_b32_e64 v28, v248, v250, s[78:79]                // 000000009564: D100001C 013BF5F8
	v_lshrrev_b32_e32 v28, 16, v28                             // 00000000956C: 20383890
	v_cmp_u_f32_e64 s[78:79], v31, v31                         // 000000009570: D048004E 00023F1F
	v_bfe_u32 v248, v31, 16, 1                                 // 000000009578: D1C800F8 0205211F
	v_add3_u32 v248, v31, v248, v251                           // 000000009580: D1FF00F8 07EFF11F
	v_cndmask_b32_e64 v29, v248, v250, s[78:79]                // 000000009588: D100001D 013BF5F8
	v_and_or_b32 v79, v29, v249, v28                           // 000000009590: D201004F 0473F31D
	ds_write_b64 v27, v[64:65] offset:16896                    // 000000009598: D89A4200 0000401B
	ds_write_b64 v27, v[66:67] offset:17424                    // 0000000095A0: D89A4410 0000421B
	ds_write_b64 v27, v[68:69] offset:17952                    // 0000000095A8: D89A4620 0000441B
	ds_write_b64 v27, v[70:71] offset:18480                    // 0000000095B0: D89A4830 0000461B
	ds_write_b64 v27, v[72:73] offset:19008                    // 0000000095B8: D89A4A40 0000481B
	ds_write_b64 v27, v[74:75] offset:19536                    // 0000000095C0: D89A4C50 00004A1B
	ds_write_b64 v27, v[76:77] offset:20064                    // 0000000095C8: D89A4E60 00004C1B
	ds_write_b64 v27, v[78:79] offset:20592                    // 0000000095D0: D89A5070 00004E1B
	s_waitcnt lgkmcnt(0)                                       // 0000000095D8: BF8CC07F
	s_barrier                                                  // 0000000095DC: BF8A0000
	ds_read_b64 v[64:65], v26 offset:16896                     // 0000000095E0: D8EC4200 4000001A
	ds_read_b64 v[66:67], v26 offset:17024                     // 0000000095E8: D8EC4280 4200001A
	ds_read_b64 v[68:69], v26 offset:16928                     // 0000000095F0: D8EC4220 4400001A
	ds_read_b64 v[70:71], v26 offset:17056                     // 0000000095F8: D8EC42A0 4600001A
	ds_read_b64 v[72:73], v26 offset:16960                     // 000000009600: D8EC4240 4800001A
	ds_read_b64 v[74:75], v26 offset:17088                     // 000000009608: D8EC42C0 4A00001A
	ds_read_b64 v[76:77], v26 offset:16992                     // 000000009610: D8EC4260 4C00001A
	ds_read_b64 v[78:79], v26 offset:17120                     // 000000009618: D8EC42E0 4E00001A
	s_waitcnt lgkmcnt(0)                                       // 000000009620: BF8CC07F
	buffer_store_dwordx4 v[64:67], v5, s[36:39], 0 idxen       // 000000009624: E07C2000 80094005
	v_add_u32_e32 v5, s46, v5                                  // 00000000962C: 680A0A2E
	buffer_store_dwordx4 v[68:71], v5, s[36:39], 0 idxen       // 000000009630: E07C2000 80094405
	v_add_u32_e32 v5, s46, v5                                  // 000000009638: 680A0A2E
	buffer_store_dwordx4 v[72:75], v5, s[36:39], 0 idxen       // 00000000963C: E07C2000 80094805
	v_add_u32_e32 v5, s46, v5                                  // 000000009644: 680A0A2E
	buffer_store_dwordx4 v[76:79], v5, s[36:39], 0 idxen       // 000000009648: E07C2000 80094C05
	v_add_u32_e32 v5, s46, v5                                  // 000000009650: 680A0A2E
	s_mul_i32 s60, 12, s46                                     // 000000009654: 923C2E8C
	v_add_u32_e32 v5, s60, v5                                  // 000000009658: 680A0A3C
	s_barrier                                                  // 00000000965C: BF8A0000
	s_cmp_ge_i32 2, s72                                        // 000000009660: BF034882
	s_cbranch_scc1 label_17DE                                  // 000000009664: BF8501C4
	v_accvgpr_read_b32 v30, a224                               // 000000009668: D3D8401E 180001E0
	v_accvgpr_read_b32 v31, a225                               // 000000009670: D3D8401F 180001E1
	v_mul_f32_e32 v30, s48, v30                                // 000000009678: 0A3C3C30
	v_mul_f32_e32 v31, s48, v31                                // 00000000967C: 0A3E3E30
	v_cmp_u_f32_e64 s[78:79], v30, v30                         // 000000009680: D048004E 00023D1E
	v_bfe_u32 v248, v30, 16, 1                                 // 000000009688: D1C800F8 0205211E
	v_add3_u32 v248, v30, v248, v251                           // 000000009690: D1FF00F8 07EFF11E
	v_cndmask_b32_e64 v28, v248, v250, s[78:79]                // 000000009698: D100001C 013BF5F8
	v_lshrrev_b32_e32 v28, 16, v28                             // 0000000096A0: 20383890
	v_cmp_u_f32_e64 s[78:79], v31, v31                         // 0000000096A4: D048004E 00023F1F
	v_bfe_u32 v248, v31, 16, 1                                 // 0000000096AC: D1C800F8 0205211F
	v_add3_u32 v248, v31, v248, v251                           // 0000000096B4: D1FF00F8 07EFF11F
	v_cndmask_b32_e64 v29, v248, v250, s[78:79]                // 0000000096BC: D100001D 013BF5F8
	v_and_or_b32 v80, v29, v249, v28                           // 0000000096C4: D2010050 0473F31D
	v_accvgpr_read_b32 v30, a226                               // 0000000096CC: D3D8401E 180001E2
	v_accvgpr_read_b32 v31, a227                               // 0000000096D4: D3D8401F 180001E3
	v_mul_f32_e32 v30, s48, v30                                // 0000000096DC: 0A3C3C30
	v_mul_f32_e32 v31, s48, v31                                // 0000000096E0: 0A3E3E30
	v_cmp_u_f32_e64 s[78:79], v30, v30                         // 0000000096E4: D048004E 00023D1E
	v_bfe_u32 v248, v30, 16, 1                                 // 0000000096EC: D1C800F8 0205211E
	v_add3_u32 v248, v30, v248, v251                           // 0000000096F4: D1FF00F8 07EFF11E
	v_cndmask_b32_e64 v28, v248, v250, s[78:79]                // 0000000096FC: D100001C 013BF5F8
	v_lshrrev_b32_e32 v28, 16, v28                             // 000000009704: 20383890
	v_cmp_u_f32_e64 s[78:79], v31, v31                         // 000000009708: D048004E 00023F1F
	v_bfe_u32 v248, v31, 16, 1                                 // 000000009710: D1C800F8 0205211F
	v_add3_u32 v248, v31, v248, v251                           // 000000009718: D1FF00F8 07EFF11F
	v_cndmask_b32_e64 v29, v248, v250, s[78:79]                // 000000009720: D100001D 013BF5F8
	v_and_or_b32 v81, v29, v249, v28                           // 000000009728: D2010051 0473F31D
	v_accvgpr_read_b32 v30, a228                               // 000000009730: D3D8401E 180001E4
	v_accvgpr_read_b32 v31, a229                               // 000000009738: D3D8401F 180001E5
	v_mul_f32_e32 v30, s48, v30                                // 000000009740: 0A3C3C30
	v_mul_f32_e32 v31, s48, v31                                // 000000009744: 0A3E3E30
	v_cmp_u_f32_e64 s[78:79], v30, v30                         // 000000009748: D048004E 00023D1E
	v_bfe_u32 v248, v30, 16, 1                                 // 000000009750: D1C800F8 0205211E
	v_add3_u32 v248, v30, v248, v251                           // 000000009758: D1FF00F8 07EFF11E
	v_cndmask_b32_e64 v28, v248, v250, s[78:79]                // 000000009760: D100001C 013BF5F8
	v_lshrrev_b32_e32 v28, 16, v28                             // 000000009768: 20383890
	v_cmp_u_f32_e64 s[78:79], v31, v31                         // 00000000976C: D048004E 00023F1F
	v_bfe_u32 v248, v31, 16, 1                                 // 000000009774: D1C800F8 0205211F
	v_add3_u32 v248, v31, v248, v251                           // 00000000977C: D1FF00F8 07EFF11F
	v_cndmask_b32_e64 v29, v248, v250, s[78:79]                // 000000009784: D100001D 013BF5F8
	v_and_or_b32 v82, v29, v249, v28                           // 00000000978C: D2010052 0473F31D
	v_accvgpr_read_b32 v30, a230                               // 000000009794: D3D8401E 180001E6
	v_accvgpr_read_b32 v31, a231                               // 00000000979C: D3D8401F 180001E7
	v_mul_f32_e32 v30, s48, v30                                // 0000000097A4: 0A3C3C30
	v_mul_f32_e32 v31, s48, v31                                // 0000000097A8: 0A3E3E30
	v_cmp_u_f32_e64 s[78:79], v30, v30                         // 0000000097AC: D048004E 00023D1E
	v_bfe_u32 v248, v30, 16, 1                                 // 0000000097B4: D1C800F8 0205211E
	v_add3_u32 v248, v30, v248, v251                           // 0000000097BC: D1FF00F8 07EFF11E
	v_cndmask_b32_e64 v28, v248, v250, s[78:79]                // 0000000097C4: D100001C 013BF5F8
	v_lshrrev_b32_e32 v28, 16, v28                             // 0000000097CC: 20383890
	v_cmp_u_f32_e64 s[78:79], v31, v31                         // 0000000097D0: D048004E 00023F1F
	v_bfe_u32 v248, v31, 16, 1                                 // 0000000097D8: D1C800F8 0205211F
	v_add3_u32 v248, v31, v248, v251                           // 0000000097E0: D1FF00F8 07EFF11F
	v_cndmask_b32_e64 v29, v248, v250, s[78:79]                // 0000000097E8: D100001D 013BF5F8
	v_and_or_b32 v83, v29, v249, v28                           // 0000000097F0: D2010053 0473F31D
	v_accvgpr_read_b32 v30, a232                               // 0000000097F8: D3D8401E 180001E8
	v_accvgpr_read_b32 v31, a233                               // 000000009800: D3D8401F 180001E9
	v_mul_f32_e32 v30, s48, v30                                // 000000009808: 0A3C3C30
	v_mul_f32_e32 v31, s48, v31                                // 00000000980C: 0A3E3E30
	v_cmp_u_f32_e64 s[78:79], v30, v30                         // 000000009810: D048004E 00023D1E
	v_bfe_u32 v248, v30, 16, 1                                 // 000000009818: D1C800F8 0205211E
	v_add3_u32 v248, v30, v248, v251                           // 000000009820: D1FF00F8 07EFF11E
	v_cndmask_b32_e64 v28, v248, v250, s[78:79]                // 000000009828: D100001C 013BF5F8
	v_lshrrev_b32_e32 v28, 16, v28                             // 000000009830: 20383890
	v_cmp_u_f32_e64 s[78:79], v31, v31                         // 000000009834: D048004E 00023F1F
	v_bfe_u32 v248, v31, 16, 1                                 // 00000000983C: D1C800F8 0205211F
	v_add3_u32 v248, v31, v248, v251                           // 000000009844: D1FF00F8 07EFF11F
	v_cndmask_b32_e64 v29, v248, v250, s[78:79]                // 00000000984C: D100001D 013BF5F8
	v_and_or_b32 v84, v29, v249, v28                           // 000000009854: D2010054 0473F31D
	v_accvgpr_read_b32 v30, a234                               // 00000000985C: D3D8401E 180001EA
	v_accvgpr_read_b32 v31, a235                               // 000000009864: D3D8401F 180001EB
	v_mul_f32_e32 v30, s48, v30                                // 00000000986C: 0A3C3C30
	v_mul_f32_e32 v31, s48, v31                                // 000000009870: 0A3E3E30
	v_cmp_u_f32_e64 s[78:79], v30, v30                         // 000000009874: D048004E 00023D1E
	v_bfe_u32 v248, v30, 16, 1                                 // 00000000987C: D1C800F8 0205211E
	v_add3_u32 v248, v30, v248, v251                           // 000000009884: D1FF00F8 07EFF11E
	v_cndmask_b32_e64 v28, v248, v250, s[78:79]                // 00000000988C: D100001C 013BF5F8
	v_lshrrev_b32_e32 v28, 16, v28                             // 000000009894: 20383890
	v_cmp_u_f32_e64 s[78:79], v31, v31                         // 000000009898: D048004E 00023F1F
	v_bfe_u32 v248, v31, 16, 1                                 // 0000000098A0: D1C800F8 0205211F
	v_add3_u32 v248, v31, v248, v251                           // 0000000098A8: D1FF00F8 07EFF11F
	v_cndmask_b32_e64 v29, v248, v250, s[78:79]                // 0000000098B0: D100001D 013BF5F8
	v_and_or_b32 v85, v29, v249, v28                           // 0000000098B8: D2010055 0473F31D
	v_accvgpr_read_b32 v30, a236                               // 0000000098C0: D3D8401E 180001EC
	v_accvgpr_read_b32 v31, a237                               // 0000000098C8: D3D8401F 180001ED
	v_mul_f32_e32 v30, s48, v30                                // 0000000098D0: 0A3C3C30
	v_mul_f32_e32 v31, s48, v31                                // 0000000098D4: 0A3E3E30
	v_cmp_u_f32_e64 s[78:79], v30, v30                         // 0000000098D8: D048004E 00023D1E
	v_bfe_u32 v248, v30, 16, 1                                 // 0000000098E0: D1C800F8 0205211E
	v_add3_u32 v248, v30, v248, v251                           // 0000000098E8: D1FF00F8 07EFF11E
	v_cndmask_b32_e64 v28, v248, v250, s[78:79]                // 0000000098F0: D100001C 013BF5F8
	v_lshrrev_b32_e32 v28, 16, v28                             // 0000000098F8: 20383890
	v_cmp_u_f32_e64 s[78:79], v31, v31                         // 0000000098FC: D048004E 00023F1F
	v_bfe_u32 v248, v31, 16, 1                                 // 000000009904: D1C800F8 0205211F
	v_add3_u32 v248, v31, v248, v251                           // 00000000990C: D1FF00F8 07EFF11F
	v_cndmask_b32_e64 v29, v248, v250, s[78:79]                // 000000009914: D100001D 013BF5F8
	v_and_or_b32 v86, v29, v249, v28                           // 00000000991C: D2010056 0473F31D
	v_accvgpr_read_b32 v30, a238                               // 000000009924: D3D8401E 180001EE
	v_accvgpr_read_b32 v31, a239                               // 00000000992C: D3D8401F 180001EF
	v_mul_f32_e32 v30, s48, v30                                // 000000009934: 0A3C3C30
	v_mul_f32_e32 v31, s48, v31                                // 000000009938: 0A3E3E30
	v_cmp_u_f32_e64 s[78:79], v30, v30                         // 00000000993C: D048004E 00023D1E
	v_bfe_u32 v248, v30, 16, 1                                 // 000000009944: D1C800F8 0205211E
	v_add3_u32 v248, v30, v248, v251                           // 00000000994C: D1FF00F8 07EFF11E
	v_cndmask_b32_e64 v28, v248, v250, s[78:79]                // 000000009954: D100001C 013BF5F8
	v_lshrrev_b32_e32 v28, 16, v28                             // 00000000995C: 20383890
	v_cmp_u_f32_e64 s[78:79], v31, v31                         // 000000009960: D048004E 00023F1F
	v_bfe_u32 v248, v31, 16, 1                                 // 000000009968: D1C800F8 0205211F
	v_add3_u32 v248, v31, v248, v251                           // 000000009970: D1FF00F8 07EFF11F
	v_cndmask_b32_e64 v29, v248, v250, s[78:79]                // 000000009978: D100001D 013BF5F8
	v_and_or_b32 v87, v29, v249, v28                           // 000000009980: D2010057 0473F31D
	v_accvgpr_read_b32 v30, a240                               // 000000009988: D3D8401E 180001F0
	v_accvgpr_read_b32 v31, a241                               // 000000009990: D3D8401F 180001F1
	v_mul_f32_e32 v30, s48, v30                                // 000000009998: 0A3C3C30
	v_mul_f32_e32 v31, s48, v31                                // 00000000999C: 0A3E3E30
	v_cmp_u_f32_e64 s[78:79], v30, v30                         // 0000000099A0: D048004E 00023D1E
	v_bfe_u32 v248, v30, 16, 1                                 // 0000000099A8: D1C800F8 0205211E
	v_add3_u32 v248, v30, v248, v251                           // 0000000099B0: D1FF00F8 07EFF11E
	v_cndmask_b32_e64 v28, v248, v250, s[78:79]                // 0000000099B8: D100001C 013BF5F8
	v_lshrrev_b32_e32 v28, 16, v28                             // 0000000099C0: 20383890
	v_cmp_u_f32_e64 s[78:79], v31, v31                         // 0000000099C4: D048004E 00023F1F
	v_bfe_u32 v248, v31, 16, 1                                 // 0000000099CC: D1C800F8 0205211F
	v_add3_u32 v248, v31, v248, v251                           // 0000000099D4: D1FF00F8 07EFF11F
	v_cndmask_b32_e64 v29, v248, v250, s[78:79]                // 0000000099DC: D100001D 013BF5F8
	v_and_or_b32 v88, v29, v249, v28                           // 0000000099E4: D2010058 0473F31D
	v_accvgpr_read_b32 v30, a242                               // 0000000099EC: D3D8401E 180001F2
	v_accvgpr_read_b32 v31, a243                               // 0000000099F4: D3D8401F 180001F3
	v_mul_f32_e32 v30, s48, v30                                // 0000000099FC: 0A3C3C30
	v_mul_f32_e32 v31, s48, v31                                // 000000009A00: 0A3E3E30
	v_cmp_u_f32_e64 s[78:79], v30, v30                         // 000000009A04: D048004E 00023D1E
	v_bfe_u32 v248, v30, 16, 1                                 // 000000009A0C: D1C800F8 0205211E
	v_add3_u32 v248, v30, v248, v251                           // 000000009A14: D1FF00F8 07EFF11E
	v_cndmask_b32_e64 v28, v248, v250, s[78:79]                // 000000009A1C: D100001C 013BF5F8
	v_lshrrev_b32_e32 v28, 16, v28                             // 000000009A24: 20383890
	v_cmp_u_f32_e64 s[78:79], v31, v31                         // 000000009A28: D048004E 00023F1F
	v_bfe_u32 v248, v31, 16, 1                                 // 000000009A30: D1C800F8 0205211F
	v_add3_u32 v248, v31, v248, v251                           // 000000009A38: D1FF00F8 07EFF11F
	v_cndmask_b32_e64 v29, v248, v250, s[78:79]                // 000000009A40: D100001D 013BF5F8
	v_and_or_b32 v89, v29, v249, v28                           // 000000009A48: D2010059 0473F31D
	v_accvgpr_read_b32 v30, a244                               // 000000009A50: D3D8401E 180001F4
	v_accvgpr_read_b32 v31, a245                               // 000000009A58: D3D8401F 180001F5
	v_mul_f32_e32 v30, s48, v30                                // 000000009A60: 0A3C3C30
	v_mul_f32_e32 v31, s48, v31                                // 000000009A64: 0A3E3E30
	v_cmp_u_f32_e64 s[78:79], v30, v30                         // 000000009A68: D048004E 00023D1E
	v_bfe_u32 v248, v30, 16, 1                                 // 000000009A70: D1C800F8 0205211E
	v_add3_u32 v248, v30, v248, v251                           // 000000009A78: D1FF00F8 07EFF11E
	v_cndmask_b32_e64 v28, v248, v250, s[78:79]                // 000000009A80: D100001C 013BF5F8
	v_lshrrev_b32_e32 v28, 16, v28                             // 000000009A88: 20383890
	v_cmp_u_f32_e64 s[78:79], v31, v31                         // 000000009A8C: D048004E 00023F1F
	v_bfe_u32 v248, v31, 16, 1                                 // 000000009A94: D1C800F8 0205211F
	v_add3_u32 v248, v31, v248, v251                           // 000000009A9C: D1FF00F8 07EFF11F
	v_cndmask_b32_e64 v29, v248, v250, s[78:79]                // 000000009AA4: D100001D 013BF5F8
	v_and_or_b32 v90, v29, v249, v28                           // 000000009AAC: D201005A 0473F31D
	v_accvgpr_read_b32 v30, a246                               // 000000009AB4: D3D8401E 180001F6
	v_accvgpr_read_b32 v31, a247                               // 000000009ABC: D3D8401F 180001F7
	v_mul_f32_e32 v30, s48, v30                                // 000000009AC4: 0A3C3C30
	v_mul_f32_e32 v31, s48, v31                                // 000000009AC8: 0A3E3E30
	v_cmp_u_f32_e64 s[78:79], v30, v30                         // 000000009ACC: D048004E 00023D1E
	v_bfe_u32 v248, v30, 16, 1                                 // 000000009AD4: D1C800F8 0205211E
	v_add3_u32 v248, v30, v248, v251                           // 000000009ADC: D1FF00F8 07EFF11E
	v_cndmask_b32_e64 v28, v248, v250, s[78:79]                // 000000009AE4: D100001C 013BF5F8
	v_lshrrev_b32_e32 v28, 16, v28                             // 000000009AEC: 20383890
	v_cmp_u_f32_e64 s[78:79], v31, v31                         // 000000009AF0: D048004E 00023F1F
	v_bfe_u32 v248, v31, 16, 1                                 // 000000009AF8: D1C800F8 0205211F
	v_add3_u32 v248, v31, v248, v251                           // 000000009B00: D1FF00F8 07EFF11F
	v_cndmask_b32_e64 v29, v248, v250, s[78:79]                // 000000009B08: D100001D 013BF5F8
	v_and_or_b32 v91, v29, v249, v28                           // 000000009B10: D201005B 0473F31D
	v_accvgpr_read_b32 v30, a248                               // 000000009B18: D3D8401E 180001F8
	v_accvgpr_read_b32 v31, a249                               // 000000009B20: D3D8401F 180001F9
	v_mul_f32_e32 v30, s48, v30                                // 000000009B28: 0A3C3C30
	v_mul_f32_e32 v31, s48, v31                                // 000000009B2C: 0A3E3E30
	v_cmp_u_f32_e64 s[78:79], v30, v30                         // 000000009B30: D048004E 00023D1E
	v_bfe_u32 v248, v30, 16, 1                                 // 000000009B38: D1C800F8 0205211E
	v_add3_u32 v248, v30, v248, v251                           // 000000009B40: D1FF00F8 07EFF11E
	v_cndmask_b32_e64 v28, v248, v250, s[78:79]                // 000000009B48: D100001C 013BF5F8
	v_lshrrev_b32_e32 v28, 16, v28                             // 000000009B50: 20383890
	v_cmp_u_f32_e64 s[78:79], v31, v31                         // 000000009B54: D048004E 00023F1F
	v_bfe_u32 v248, v31, 16, 1                                 // 000000009B5C: D1C800F8 0205211F
	v_add3_u32 v248, v31, v248, v251                           // 000000009B64: D1FF00F8 07EFF11F
	v_cndmask_b32_e64 v29, v248, v250, s[78:79]                // 000000009B6C: D100001D 013BF5F8
	v_and_or_b32 v92, v29, v249, v28                           // 000000009B74: D201005C 0473F31D
	v_accvgpr_read_b32 v30, a250                               // 000000009B7C: D3D8401E 180001FA
	v_accvgpr_read_b32 v31, a251                               // 000000009B84: D3D8401F 180001FB
	v_mul_f32_e32 v30, s48, v30                                // 000000009B8C: 0A3C3C30
	v_mul_f32_e32 v31, s48, v31                                // 000000009B90: 0A3E3E30
	v_cmp_u_f32_e64 s[78:79], v30, v30                         // 000000009B94: D048004E 00023D1E
	v_bfe_u32 v248, v30, 16, 1                                 // 000000009B9C: D1C800F8 0205211E
	v_add3_u32 v248, v30, v248, v251                           // 000000009BA4: D1FF00F8 07EFF11E
	v_cndmask_b32_e64 v28, v248, v250, s[78:79]                // 000000009BAC: D100001C 013BF5F8
	v_lshrrev_b32_e32 v28, 16, v28                             // 000000009BB4: 20383890
	v_cmp_u_f32_e64 s[78:79], v31, v31                         // 000000009BB8: D048004E 00023F1F
	v_bfe_u32 v248, v31, 16, 1                                 // 000000009BC0: D1C800F8 0205211F
	v_add3_u32 v248, v31, v248, v251                           // 000000009BC8: D1FF00F8 07EFF11F
	v_cndmask_b32_e64 v29, v248, v250, s[78:79]                // 000000009BD0: D100001D 013BF5F8
	v_and_or_b32 v93, v29, v249, v28                           // 000000009BD8: D201005D 0473F31D
	v_accvgpr_read_b32 v30, a252                               // 000000009BE0: D3D8401E 180001FC
	v_accvgpr_read_b32 v31, a253                               // 000000009BE8: D3D8401F 180001FD
	v_mul_f32_e32 v30, s48, v30                                // 000000009BF0: 0A3C3C30
	v_mul_f32_e32 v31, s48, v31                                // 000000009BF4: 0A3E3E30
	v_cmp_u_f32_e64 s[78:79], v30, v30                         // 000000009BF8: D048004E 00023D1E
	v_bfe_u32 v248, v30, 16, 1                                 // 000000009C00: D1C800F8 0205211E
	v_add3_u32 v248, v30, v248, v251                           // 000000009C08: D1FF00F8 07EFF11E
	v_cndmask_b32_e64 v28, v248, v250, s[78:79]                // 000000009C10: D100001C 013BF5F8
	v_lshrrev_b32_e32 v28, 16, v28                             // 000000009C18: 20383890
	v_cmp_u_f32_e64 s[78:79], v31, v31                         // 000000009C1C: D048004E 00023F1F
	v_bfe_u32 v248, v31, 16, 1                                 // 000000009C24: D1C800F8 0205211F
	v_add3_u32 v248, v31, v248, v251                           // 000000009C2C: D1FF00F8 07EFF11F
	v_cndmask_b32_e64 v29, v248, v250, s[78:79]                // 000000009C34: D100001D 013BF5F8
	v_and_or_b32 v94, v29, v249, v28                           // 000000009C3C: D201005E 0473F31D
	v_accvgpr_read_b32 v30, a254                               // 000000009C44: D3D8401E 180001FE
	v_accvgpr_read_b32 v31, a255                               // 000000009C4C: D3D8401F 180001FF
	v_mul_f32_e32 v30, s48, v30                                // 000000009C54: 0A3C3C30
	v_mul_f32_e32 v31, s48, v31                                // 000000009C58: 0A3E3E30
	v_cmp_u_f32_e64 s[78:79], v30, v30                         // 000000009C5C: D048004E 00023D1E
	v_bfe_u32 v248, v30, 16, 1                                 // 000000009C64: D1C800F8 0205211E
	v_add3_u32 v248, v30, v248, v251                           // 000000009C6C: D1FF00F8 07EFF11E
	v_cndmask_b32_e64 v28, v248, v250, s[78:79]                // 000000009C74: D100001C 013BF5F8
	v_lshrrev_b32_e32 v28, 16, v28                             // 000000009C7C: 20383890
	v_cmp_u_f32_e64 s[78:79], v31, v31                         // 000000009C80: D048004E 00023F1F
	v_bfe_u32 v248, v31, 16, 1                                 // 000000009C88: D1C800F8 0205211F
	v_add3_u32 v248, v31, v248, v251                           // 000000009C90: D1FF00F8 07EFF11F
	v_cndmask_b32_e64 v29, v248, v250, s[78:79]                // 000000009C98: D100001D 013BF5F8
	v_and_or_b32 v95, v29, v249, v28                           // 000000009CA0: D201005F 0473F31D
	ds_write_b64 v27, v[80:81] offset:33792                    // 000000009CA8: D89A8400 0000501B
	ds_write_b64 v27, v[82:83] offset:34320                    // 000000009CB0: D89A8610 0000521B
	ds_write_b64 v27, v[84:85] offset:34848                    // 000000009CB8: D89A8820 0000541B
	ds_write_b64 v27, v[86:87] offset:35376                    // 000000009CC0: D89A8A30 0000561B
	ds_write_b64 v27, v[88:89] offset:35904                    // 000000009CC8: D89A8C40 0000581B
	ds_write_b64 v27, v[90:91] offset:36432                    // 000000009CD0: D89A8E50 00005A1B
	ds_write_b64 v27, v[92:93] offset:36960                    // 000000009CD8: D89A9060 00005C1B
	ds_write_b64 v27, v[94:95] offset:37488                    // 000000009CE0: D89A9270 00005E1B
	s_waitcnt lgkmcnt(0)                                       // 000000009CE8: BF8CC07F
	s_barrier                                                  // 000000009CEC: BF8A0000
	ds_read_b64 v[80:81], v26 offset:33792                     // 000000009CF0: D8EC8400 5000001A
	ds_read_b64 v[82:83], v26 offset:33920                     // 000000009CF8: D8EC8480 5200001A
	ds_read_b64 v[84:85], v26 offset:33824                     // 000000009D00: D8EC8420 5400001A
	ds_read_b64 v[86:87], v26 offset:33952                     // 000000009D08: D8EC84A0 5600001A
	ds_read_b64 v[88:89], v26 offset:33856                     // 000000009D10: D8EC8440 5800001A
	ds_read_b64 v[90:91], v26 offset:33984                     // 000000009D18: D8EC84C0 5A00001A
	ds_read_b64 v[92:93], v26 offset:33888                     // 000000009D20: D8EC8460 5C00001A
	ds_read_b64 v[94:95], v26 offset:34016                     // 000000009D28: D8EC84E0 5E00001A
	s_waitcnt lgkmcnt(0)                                       // 000000009D30: BF8CC07F
	buffer_store_dwordx4 v[80:83], v5, s[36:39], 0 idxen       // 000000009D34: E07C2000 80095005
	v_add_u32_e32 v5, s46, v5                                  // 000000009D3C: 680A0A2E
	buffer_store_dwordx4 v[84:87], v5, s[36:39], 0 idxen       // 000000009D40: E07C2000 80095405
	v_add_u32_e32 v5, s46, v5                                  // 000000009D48: 680A0A2E
	buffer_store_dwordx4 v[88:91], v5, s[36:39], 0 idxen       // 000000009D4C: E07C2000 80095805
	v_add_u32_e32 v5, s46, v5                                  // 000000009D54: 680A0A2E
	buffer_store_dwordx4 v[92:95], v5, s[36:39], 0 idxen       // 000000009D58: E07C2000 80095C05
	v_add_u32_e32 v5, s46, v5                                  // 000000009D60: 680A0A2E
	s_mul_i32 s60, 12, s46                                     // 000000009D64: 923C2E8C
	v_add_u32_e32 v5, s60, v5                                  // 000000009D68: 680A0A3C
	s_barrier                                                  // 000000009D6C: BF8A0000
	s_cmp_ge_i32 3, s72                                        // 000000009D70: BF034883
	s_cbranch_scc1 label_17DE                                  // 000000009D74: BF850000

0000000000009d78 <label_17DE>:
	v_mov_b32_e32 v30, v152                                    // 000000009D78: 7E3C0398
	v_mov_b32_e32 v31, v153                                    // 000000009D7C: 7E3E0399
	v_cmp_u_f32_e64 s[78:79], v30, v30                         // 000000009D80: D048004E 00023D1E
	v_bfe_u32 v248, v30, 16, 1                                 // 000000009D88: D1C800F8 0205211E
	v_add3_u32 v248, v30, v248, v251                           // 000000009D90: D1FF00F8 07EFF11E
	v_cndmask_b32_e64 v28, v248, v250, s[78:79]                // 000000009D98: D100001C 013BF5F8
	v_lshrrev_b32_e32 v28, 16, v28                             // 000000009DA0: 20383890
	v_cmp_u_f32_e64 s[78:79], v31, v31                         // 000000009DA4: D048004E 00023F1F
	v_bfe_u32 v248, v31, 16, 1                                 // 000000009DAC: D1C800F8 0205211F
	v_add3_u32 v248, v31, v248, v251                           // 000000009DB4: D1FF00F8 07EFF11F
	v_cndmask_b32_e64 v29, v248, v250, s[78:79]                // 000000009DBC: D100001D 013BF5F8
	v_and_or_b32 v152, v29, v249, v28                          // 000000009DC4: D2010098 0473F31D
	v_mov_b32_e32 v30, v154                                    // 000000009DCC: 7E3C039A
	v_mov_b32_e32 v31, v155                                    // 000000009DD0: 7E3E039B
	v_cmp_u_f32_e64 s[78:79], v30, v30                         // 000000009DD4: D048004E 00023D1E
	v_bfe_u32 v248, v30, 16, 1                                 // 000000009DDC: D1C800F8 0205211E
	v_add3_u32 v248, v30, v248, v251                           // 000000009DE4: D1FF00F8 07EFF11E
	v_cndmask_b32_e64 v28, v248, v250, s[78:79]                // 000000009DEC: D100001C 013BF5F8
	v_lshrrev_b32_e32 v28, 16, v28                             // 000000009DF4: 20383890
	v_cmp_u_f32_e64 s[78:79], v31, v31                         // 000000009DF8: D048004E 00023F1F
	v_bfe_u32 v248, v31, 16, 1                                 // 000000009E00: D1C800F8 0205211F
	v_add3_u32 v248, v31, v248, v251                           // 000000009E08: D1FF00F8 07EFF11F
	v_cndmask_b32_e64 v29, v248, v250, s[78:79]                // 000000009E10: D100001D 013BF5F8
	v_and_or_b32 v153, v29, v249, v28                          // 000000009E18: D2010099 0473F31D
	v_mov_b32_e32 v30, v156                                    // 000000009E20: 7E3C039C
	v_mov_b32_e32 v31, v157                                    // 000000009E24: 7E3E039D
	v_cmp_u_f32_e64 s[78:79], v30, v30                         // 000000009E28: D048004E 00023D1E
	v_bfe_u32 v248, v30, 16, 1                                 // 000000009E30: D1C800F8 0205211E
	v_add3_u32 v248, v30, v248, v251                           // 000000009E38: D1FF00F8 07EFF11E
	v_cndmask_b32_e64 v28, v248, v250, s[78:79]                // 000000009E40: D100001C 013BF5F8
	v_lshrrev_b32_e32 v28, 16, v28                             // 000000009E48: 20383890
	v_cmp_u_f32_e64 s[78:79], v31, v31                         // 000000009E4C: D048004E 00023F1F
	v_bfe_u32 v248, v31, 16, 1                                 // 000000009E54: D1C800F8 0205211F
	v_add3_u32 v248, v31, v248, v251                           // 000000009E5C: D1FF00F8 07EFF11F
	v_cndmask_b32_e64 v29, v248, v250, s[78:79]                // 000000009E64: D100001D 013BF5F8
	v_and_or_b32 v154, v29, v249, v28                          // 000000009E6C: D201009A 0473F31D
	v_mov_b32_e32 v30, v158                                    // 000000009E74: 7E3C039E
	v_mov_b32_e32 v31, v159                                    // 000000009E78: 7E3E039F
	v_cmp_u_f32_e64 s[78:79], v30, v30                         // 000000009E7C: D048004E 00023D1E
	v_bfe_u32 v248, v30, 16, 1                                 // 000000009E84: D1C800F8 0205211E
	v_add3_u32 v248, v30, v248, v251                           // 000000009E8C: D1FF00F8 07EFF11E
	v_cndmask_b32_e64 v28, v248, v250, s[78:79]                // 000000009E94: D100001C 013BF5F8
	v_lshrrev_b32_e32 v28, 16, v28                             // 000000009E9C: 20383890
	v_cmp_u_f32_e64 s[78:79], v31, v31                         // 000000009EA0: D048004E 00023F1F
	v_bfe_u32 v248, v31, 16, 1                                 // 000000009EA8: D1C800F8 0205211F
	v_add3_u32 v248, v31, v248, v251                           // 000000009EB0: D1FF00F8 07EFF11F
	v_cndmask_b32_e64 v29, v248, v250, s[78:79]                // 000000009EB8: D100001D 013BF5F8
	v_and_or_b32 v155, v29, v249, v28                          // 000000009EC0: D201009B 0473F31D
	v_mov_b32_e32 v30, v160                                    // 000000009EC8: 7E3C03A0
	v_mov_b32_e32 v31, v161                                    // 000000009ECC: 7E3E03A1
	v_cmp_u_f32_e64 s[78:79], v30, v30                         // 000000009ED0: D048004E 00023D1E
	v_bfe_u32 v248, v30, 16, 1                                 // 000000009ED8: D1C800F8 0205211E
	v_add3_u32 v248, v30, v248, v251                           // 000000009EE0: D1FF00F8 07EFF11E
	v_cndmask_b32_e64 v28, v248, v250, s[78:79]                // 000000009EE8: D100001C 013BF5F8
	v_lshrrev_b32_e32 v28, 16, v28                             // 000000009EF0: 20383890
	v_cmp_u_f32_e64 s[78:79], v31, v31                         // 000000009EF4: D048004E 00023F1F
	v_bfe_u32 v248, v31, 16, 1                                 // 000000009EFC: D1C800F8 0205211F
	v_add3_u32 v248, v31, v248, v251                           // 000000009F04: D1FF00F8 07EFF11F
	v_cndmask_b32_e64 v29, v248, v250, s[78:79]                // 000000009F0C: D100001D 013BF5F8
	v_and_or_b32 v156, v29, v249, v28                          // 000000009F14: D201009C 0473F31D
	v_mov_b32_e32 v30, v162                                    // 000000009F1C: 7E3C03A2
	v_mov_b32_e32 v31, v163                                    // 000000009F20: 7E3E03A3
	v_cmp_u_f32_e64 s[78:79], v30, v30                         // 000000009F24: D048004E 00023D1E
	v_bfe_u32 v248, v30, 16, 1                                 // 000000009F2C: D1C800F8 0205211E
	v_add3_u32 v248, v30, v248, v251                           // 000000009F34: D1FF00F8 07EFF11E
	v_cndmask_b32_e64 v28, v248, v250, s[78:79]                // 000000009F3C: D100001C 013BF5F8
	v_lshrrev_b32_e32 v28, 16, v28                             // 000000009F44: 20383890
	v_cmp_u_f32_e64 s[78:79], v31, v31                         // 000000009F48: D048004E 00023F1F
	v_bfe_u32 v248, v31, 16, 1                                 // 000000009F50: D1C800F8 0205211F
	v_add3_u32 v248, v31, v248, v251                           // 000000009F58: D1FF00F8 07EFF11F
	v_cndmask_b32_e64 v29, v248, v250, s[78:79]                // 000000009F60: D100001D 013BF5F8
	v_and_or_b32 v157, v29, v249, v28                          // 000000009F68: D201009D 0473F31D
	v_mov_b32_e32 v30, v164                                    // 000000009F70: 7E3C03A4
	v_mov_b32_e32 v31, v165                                    // 000000009F74: 7E3E03A5
	v_cmp_u_f32_e64 s[78:79], v30, v30                         // 000000009F78: D048004E 00023D1E
	v_bfe_u32 v248, v30, 16, 1                                 // 000000009F80: D1C800F8 0205211E
	v_add3_u32 v248, v30, v248, v251                           // 000000009F88: D1FF00F8 07EFF11E
	v_cndmask_b32_e64 v28, v248, v250, s[78:79]                // 000000009F90: D100001C 013BF5F8
	v_lshrrev_b32_e32 v28, 16, v28                             // 000000009F98: 20383890
	v_cmp_u_f32_e64 s[78:79], v31, v31                         // 000000009F9C: D048004E 00023F1F
	v_bfe_u32 v248, v31, 16, 1                                 // 000000009FA4: D1C800F8 0205211F
	v_add3_u32 v248, v31, v248, v251                           // 000000009FAC: D1FF00F8 07EFF11F
	v_cndmask_b32_e64 v29, v248, v250, s[78:79]                // 000000009FB4: D100001D 013BF5F8
	v_and_or_b32 v158, v29, v249, v28                          // 000000009FBC: D201009E 0473F31D
	v_mov_b32_e32 v30, v166                                    // 000000009FC4: 7E3C03A6
	v_mov_b32_e32 v31, v167                                    // 000000009FC8: 7E3E03A7
	v_cmp_u_f32_e64 s[78:79], v30, v30                         // 000000009FCC: D048004E 00023D1E
	v_bfe_u32 v248, v30, 16, 1                                 // 000000009FD4: D1C800F8 0205211E
	v_add3_u32 v248, v30, v248, v251                           // 000000009FDC: D1FF00F8 07EFF11E
	v_cndmask_b32_e64 v28, v248, v250, s[78:79]                // 000000009FE4: D100001C 013BF5F8
	v_lshrrev_b32_e32 v28, 16, v28                             // 000000009FEC: 20383890
	v_cmp_u_f32_e64 s[78:79], v31, v31                         // 000000009FF0: D048004E 00023F1F
	v_bfe_u32 v248, v31, 16, 1                                 // 000000009FF8: D1C800F8 0205211F
	v_add3_u32 v248, v31, v248, v251                           // 00000000A000: D1FF00F8 07EFF11F
	v_cndmask_b32_e64 v29, v248, v250, s[78:79]                // 00000000A008: D100001D 013BF5F8
	v_and_or_b32 v159, v29, v249, v28                          // 00000000A010: D201009F 0473F31D
	v_mov_b32_e32 v30, v168                                    // 00000000A018: 7E3C03A8
	v_mov_b32_e32 v31, v169                                    // 00000000A01C: 7E3E03A9
	v_cmp_u_f32_e64 s[78:79], v30, v30                         // 00000000A020: D048004E 00023D1E
	v_bfe_u32 v248, v30, 16, 1                                 // 00000000A028: D1C800F8 0205211E
	v_add3_u32 v248, v30, v248, v251                           // 00000000A030: D1FF00F8 07EFF11E
	v_cndmask_b32_e64 v28, v248, v250, s[78:79]                // 00000000A038: D100001C 013BF5F8
	v_lshrrev_b32_e32 v28, 16, v28                             // 00000000A040: 20383890
	v_cmp_u_f32_e64 s[78:79], v31, v31                         // 00000000A044: D048004E 00023F1F
	v_bfe_u32 v248, v31, 16, 1                                 // 00000000A04C: D1C800F8 0205211F
	v_add3_u32 v248, v31, v248, v251                           // 00000000A054: D1FF00F8 07EFF11F
	v_cndmask_b32_e64 v29, v248, v250, s[78:79]                // 00000000A05C: D100001D 013BF5F8
	v_and_or_b32 v160, v29, v249, v28                          // 00000000A064: D20100A0 0473F31D
	v_mov_b32_e32 v30, v170                                    // 00000000A06C: 7E3C03AA
	v_mov_b32_e32 v31, v171                                    // 00000000A070: 7E3E03AB
	v_cmp_u_f32_e64 s[78:79], v30, v30                         // 00000000A074: D048004E 00023D1E
	v_bfe_u32 v248, v30, 16, 1                                 // 00000000A07C: D1C800F8 0205211E
	v_add3_u32 v248, v30, v248, v251                           // 00000000A084: D1FF00F8 07EFF11E
	v_cndmask_b32_e64 v28, v248, v250, s[78:79]                // 00000000A08C: D100001C 013BF5F8
	v_lshrrev_b32_e32 v28, 16, v28                             // 00000000A094: 20383890
	v_cmp_u_f32_e64 s[78:79], v31, v31                         // 00000000A098: D048004E 00023F1F
	v_bfe_u32 v248, v31, 16, 1                                 // 00000000A0A0: D1C800F8 0205211F
	v_add3_u32 v248, v31, v248, v251                           // 00000000A0A8: D1FF00F8 07EFF11F
	v_cndmask_b32_e64 v29, v248, v250, s[78:79]                // 00000000A0B0: D100001D 013BF5F8
	v_and_or_b32 v161, v29, v249, v28                          // 00000000A0B8: D20100A1 0473F31D
	v_mov_b32_e32 v30, v172                                    // 00000000A0C0: 7E3C03AC
	v_mov_b32_e32 v31, v173                                    // 00000000A0C4: 7E3E03AD
	v_cmp_u_f32_e64 s[78:79], v30, v30                         // 00000000A0C8: D048004E 00023D1E
	v_bfe_u32 v248, v30, 16, 1                                 // 00000000A0D0: D1C800F8 0205211E
	v_add3_u32 v248, v30, v248, v251                           // 00000000A0D8: D1FF00F8 07EFF11E
	v_cndmask_b32_e64 v28, v248, v250, s[78:79]                // 00000000A0E0: D100001C 013BF5F8
	v_lshrrev_b32_e32 v28, 16, v28                             // 00000000A0E8: 20383890
	v_cmp_u_f32_e64 s[78:79], v31, v31                         // 00000000A0EC: D048004E 00023F1F
	v_bfe_u32 v248, v31, 16, 1                                 // 00000000A0F4: D1C800F8 0205211F
	v_add3_u32 v248, v31, v248, v251                           // 00000000A0FC: D1FF00F8 07EFF11F
	v_cndmask_b32_e64 v29, v248, v250, s[78:79]                // 00000000A104: D100001D 013BF5F8
	v_and_or_b32 v162, v29, v249, v28                          // 00000000A10C: D20100A2 0473F31D
	v_mov_b32_e32 v30, v174                                    // 00000000A114: 7E3C03AE
	v_mov_b32_e32 v31, v175                                    // 00000000A118: 7E3E03AF
	v_cmp_u_f32_e64 s[78:79], v30, v30                         // 00000000A11C: D048004E 00023D1E
	v_bfe_u32 v248, v30, 16, 1                                 // 00000000A124: D1C800F8 0205211E
	v_add3_u32 v248, v30, v248, v251                           // 00000000A12C: D1FF00F8 07EFF11E
	v_cndmask_b32_e64 v28, v248, v250, s[78:79]                // 00000000A134: D100001C 013BF5F8
	v_lshrrev_b32_e32 v28, 16, v28                             // 00000000A13C: 20383890
	v_cmp_u_f32_e64 s[78:79], v31, v31                         // 00000000A140: D048004E 00023F1F
	v_bfe_u32 v248, v31, 16, 1                                 // 00000000A148: D1C800F8 0205211F
	v_add3_u32 v248, v31, v248, v251                           // 00000000A150: D1FF00F8 07EFF11F
	v_cndmask_b32_e64 v29, v248, v250, s[78:79]                // 00000000A158: D100001D 013BF5F8
	v_and_or_b32 v163, v29, v249, v28                          // 00000000A160: D20100A3 0473F31D
	v_mov_b32_e32 v30, v176                                    // 00000000A168: 7E3C03B0
	v_mov_b32_e32 v31, v177                                    // 00000000A16C: 7E3E03B1
	v_cmp_u_f32_e64 s[78:79], v30, v30                         // 00000000A170: D048004E 00023D1E
	v_bfe_u32 v248, v30, 16, 1                                 // 00000000A178: D1C800F8 0205211E
	v_add3_u32 v248, v30, v248, v251                           // 00000000A180: D1FF00F8 07EFF11E
	v_cndmask_b32_e64 v28, v248, v250, s[78:79]                // 00000000A188: D100001C 013BF5F8
	v_lshrrev_b32_e32 v28, 16, v28                             // 00000000A190: 20383890
	v_cmp_u_f32_e64 s[78:79], v31, v31                         // 00000000A194: D048004E 00023F1F
	v_bfe_u32 v248, v31, 16, 1                                 // 00000000A19C: D1C800F8 0205211F
	v_add3_u32 v248, v31, v248, v251                           // 00000000A1A4: D1FF00F8 07EFF11F
	v_cndmask_b32_e64 v29, v248, v250, s[78:79]                // 00000000A1AC: D100001D 013BF5F8
	v_and_or_b32 v164, v29, v249, v28                          // 00000000A1B4: D20100A4 0473F31D
	v_mov_b32_e32 v30, v178                                    // 00000000A1BC: 7E3C03B2
	v_mov_b32_e32 v31, v179                                    // 00000000A1C0: 7E3E03B3
	v_cmp_u_f32_e64 s[78:79], v30, v30                         // 00000000A1C4: D048004E 00023D1E
	v_bfe_u32 v248, v30, 16, 1                                 // 00000000A1CC: D1C800F8 0205211E
	v_add3_u32 v248, v30, v248, v251                           // 00000000A1D4: D1FF00F8 07EFF11E
	v_cndmask_b32_e64 v28, v248, v250, s[78:79]                // 00000000A1DC: D100001C 013BF5F8
	v_lshrrev_b32_e32 v28, 16, v28                             // 00000000A1E4: 20383890
	v_cmp_u_f32_e64 s[78:79], v31, v31                         // 00000000A1E8: D048004E 00023F1F
	v_bfe_u32 v248, v31, 16, 1                                 // 00000000A1F0: D1C800F8 0205211F
	v_add3_u32 v248, v31, v248, v251                           // 00000000A1F8: D1FF00F8 07EFF11F
	v_cndmask_b32_e64 v29, v248, v250, s[78:79]                // 00000000A200: D100001D 013BF5F8
	v_and_or_b32 v165, v29, v249, v28                          // 00000000A208: D20100A5 0473F31D
	v_mov_b32_e32 v30, v180                                    // 00000000A210: 7E3C03B4
	v_mov_b32_e32 v31, v181                                    // 00000000A214: 7E3E03B5
	v_cmp_u_f32_e64 s[78:79], v30, v30                         // 00000000A218: D048004E 00023D1E
	v_bfe_u32 v248, v30, 16, 1                                 // 00000000A220: D1C800F8 0205211E
	v_add3_u32 v248, v30, v248, v251                           // 00000000A228: D1FF00F8 07EFF11E
	v_cndmask_b32_e64 v28, v248, v250, s[78:79]                // 00000000A230: D100001C 013BF5F8
	v_lshrrev_b32_e32 v28, 16, v28                             // 00000000A238: 20383890
	v_cmp_u_f32_e64 s[78:79], v31, v31                         // 00000000A23C: D048004E 00023F1F
	v_bfe_u32 v248, v31, 16, 1                                 // 00000000A244: D1C800F8 0205211F
	v_add3_u32 v248, v31, v248, v251                           // 00000000A24C: D1FF00F8 07EFF11F
	v_cndmask_b32_e64 v29, v248, v250, s[78:79]                // 00000000A254: D100001D 013BF5F8
	v_and_or_b32 v166, v29, v249, v28                          // 00000000A25C: D20100A6 0473F31D
	v_mov_b32_e32 v30, v182                                    // 00000000A264: 7E3C03B6
	v_mov_b32_e32 v31, v183                                    // 00000000A268: 7E3E03B7
	v_cmp_u_f32_e64 s[78:79], v30, v30                         // 00000000A26C: D048004E 00023D1E
	v_bfe_u32 v248, v30, 16, 1                                 // 00000000A274: D1C800F8 0205211E
	v_add3_u32 v248, v30, v248, v251                           // 00000000A27C: D1FF00F8 07EFF11E
	v_cndmask_b32_e64 v28, v248, v250, s[78:79]                // 00000000A284: D100001C 013BF5F8
	v_lshrrev_b32_e32 v28, 16, v28                             // 00000000A28C: 20383890
	v_cmp_u_f32_e64 s[78:79], v31, v31                         // 00000000A290: D048004E 00023F1F
	v_bfe_u32 v248, v31, 16, 1                                 // 00000000A298: D1C800F8 0205211F
	v_add3_u32 v248, v31, v248, v251                           // 00000000A2A0: D1FF00F8 07EFF11F
	v_cndmask_b32_e64 v29, v248, v250, s[78:79]                // 00000000A2A8: D100001D 013BF5F8
	v_and_or_b32 v167, v29, v249, v28                          // 00000000A2B0: D20100A7 0473F31D
	ds_write_b64 v27, v[152:153]                               // 00000000A2B8: D89A0000 0000981B
	ds_write_b64 v27, v[154:155] offset:528                    // 00000000A2C0: D89A0210 00009A1B
	ds_write_b64 v27, v[156:157] offset:1056                   // 00000000A2C8: D89A0420 00009C1B
	ds_write_b64 v27, v[158:159] offset:1584                   // 00000000A2D0: D89A0630 00009E1B
	ds_write_b64 v27, v[160:161] offset:2112                   // 00000000A2D8: D89A0840 0000A01B
	ds_write_b64 v27, v[162:163] offset:2640                   // 00000000A2E0: D89A0A50 0000A21B
	ds_write_b64 v27, v[164:165] offset:3168                   // 00000000A2E8: D89A0C60 0000A41B
	ds_write_b64 v27, v[166:167] offset:3696                   // 00000000A2F0: D89A0E70 0000A61B
	s_waitcnt lgkmcnt(0)                                       // 00000000A2F8: BF8CC07F
	s_barrier                                                  // 00000000A2FC: BF8A0000
	ds_read_b64 v[152:153], v26                                // 00000000A300: D8EC0000 9800001A
	ds_read_b64 v[154:155], v26 offset:128                     // 00000000A308: D8EC0080 9A00001A
	ds_read_b64 v[156:157], v26 offset:32                      // 00000000A310: D8EC0020 9C00001A
	ds_read_b64 v[158:159], v26 offset:160                     // 00000000A318: D8EC00A0 9E00001A
	ds_read_b64 v[160:161], v26 offset:64                      // 00000000A320: D8EC0040 A000001A
	ds_read_b64 v[162:163], v26 offset:192                     // 00000000A328: D8EC00C0 A200001A
	ds_read_b64 v[164:165], v26 offset:96                      // 00000000A330: D8EC0060 A400001A
	ds_read_b64 v[166:167], v26 offset:224                     // 00000000A338: D8EC00E0 A600001A
	s_waitcnt lgkmcnt(0)                                       // 00000000A340: BF8CC07F
	buffer_store_dwordx4 v[152:155], v10, s[40:43], 0 idxen    // 00000000A344: E07C2000 800A980A
	v_add_u32_e32 v10, s46, v10                                // 00000000A34C: 6814142E
	buffer_store_dwordx4 v[156:159], v10, s[40:43], 0 idxen    // 00000000A350: E07C2000 800A9C0A
	v_add_u32_e32 v10, s46, v10                                // 00000000A358: 6814142E
	buffer_store_dwordx4 v[160:163], v10, s[40:43], 0 idxen    // 00000000A35C: E07C2000 800AA00A
	v_add_u32_e32 v10, s46, v10                                // 00000000A364: 6814142E
	buffer_store_dwordx4 v[164:167], v10, s[40:43], 0 idxen    // 00000000A368: E07C2000 800AA40A
	v_add_u32_e32 v10, s46, v10                                // 00000000A370: 6814142E
	s_mul_i32 s60, 12, s46                                     // 00000000A374: 923C2E8C
	v_add_u32_e32 v10, s60, v10                                // 00000000A378: 6814143C
	s_cmp_ge_i32 1, s72                                        // 00000000A37C: BF034881
	s_cbranch_scc1 label_1C67                                  // 00000000A380: BF850306
	v_mov_b32_e32 v30, v184                                    // 00000000A384: 7E3C03B8
	v_mov_b32_e32 v31, v185                                    // 00000000A388: 7E3E03B9
	v_cmp_u_f32_e64 s[78:79], v30, v30                         // 00000000A38C: D048004E 00023D1E
	v_bfe_u32 v248, v30, 16, 1                                 // 00000000A394: D1C800F8 0205211E
	v_add3_u32 v248, v30, v248, v251                           // 00000000A39C: D1FF00F8 07EFF11E
	v_cndmask_b32_e64 v28, v248, v250, s[78:79]                // 00000000A3A4: D100001C 013BF5F8
	v_lshrrev_b32_e32 v28, 16, v28                             // 00000000A3AC: 20383890
	v_cmp_u_f32_e64 s[78:79], v31, v31                         // 00000000A3B0: D048004E 00023F1F
	v_bfe_u32 v248, v31, 16, 1                                 // 00000000A3B8: D1C800F8 0205211F
	v_add3_u32 v248, v31, v248, v251                           // 00000000A3C0: D1FF00F8 07EFF11F
	v_cndmask_b32_e64 v29, v248, v250, s[78:79]                // 00000000A3C8: D100001D 013BF5F8
	v_and_or_b32 v168, v29, v249, v28                          // 00000000A3D0: D20100A8 0473F31D
	v_mov_b32_e32 v30, v186                                    // 00000000A3D8: 7E3C03BA
	v_mov_b32_e32 v31, v187                                    // 00000000A3DC: 7E3E03BB
	v_cmp_u_f32_e64 s[78:79], v30, v30                         // 00000000A3E0: D048004E 00023D1E
	v_bfe_u32 v248, v30, 16, 1                                 // 00000000A3E8: D1C800F8 0205211E
	v_add3_u32 v248, v30, v248, v251                           // 00000000A3F0: D1FF00F8 07EFF11E
	v_cndmask_b32_e64 v28, v248, v250, s[78:79]                // 00000000A3F8: D100001C 013BF5F8
	v_lshrrev_b32_e32 v28, 16, v28                             // 00000000A400: 20383890
	v_cmp_u_f32_e64 s[78:79], v31, v31                         // 00000000A404: D048004E 00023F1F
	v_bfe_u32 v248, v31, 16, 1                                 // 00000000A40C: D1C800F8 0205211F
	v_add3_u32 v248, v31, v248, v251                           // 00000000A414: D1FF00F8 07EFF11F
	v_cndmask_b32_e64 v29, v248, v250, s[78:79]                // 00000000A41C: D100001D 013BF5F8
	v_and_or_b32 v169, v29, v249, v28                          // 00000000A424: D20100A9 0473F31D
	v_mov_b32_e32 v30, v188                                    // 00000000A42C: 7E3C03BC
	v_mov_b32_e32 v31, v189                                    // 00000000A430: 7E3E03BD
	v_cmp_u_f32_e64 s[78:79], v30, v30                         // 00000000A434: D048004E 00023D1E
	v_bfe_u32 v248, v30, 16, 1                                 // 00000000A43C: D1C800F8 0205211E
	v_add3_u32 v248, v30, v248, v251                           // 00000000A444: D1FF00F8 07EFF11E
	v_cndmask_b32_e64 v28, v248, v250, s[78:79]                // 00000000A44C: D100001C 013BF5F8
	v_lshrrev_b32_e32 v28, 16, v28                             // 00000000A454: 20383890
	v_cmp_u_f32_e64 s[78:79], v31, v31                         // 00000000A458: D048004E 00023F1F
	v_bfe_u32 v248, v31, 16, 1                                 // 00000000A460: D1C800F8 0205211F
	v_add3_u32 v248, v31, v248, v251                           // 00000000A468: D1FF00F8 07EFF11F
	v_cndmask_b32_e64 v29, v248, v250, s[78:79]                // 00000000A470: D100001D 013BF5F8
	v_and_or_b32 v170, v29, v249, v28                          // 00000000A478: D20100AA 0473F31D
	v_mov_b32_e32 v30, v190                                    // 00000000A480: 7E3C03BE
	v_mov_b32_e32 v31, v191                                    // 00000000A484: 7E3E03BF
	v_cmp_u_f32_e64 s[78:79], v30, v30                         // 00000000A488: D048004E 00023D1E
	v_bfe_u32 v248, v30, 16, 1                                 // 00000000A490: D1C800F8 0205211E
	v_add3_u32 v248, v30, v248, v251                           // 00000000A498: D1FF00F8 07EFF11E
	v_cndmask_b32_e64 v28, v248, v250, s[78:79]                // 00000000A4A0: D100001C 013BF5F8
	v_lshrrev_b32_e32 v28, 16, v28                             // 00000000A4A8: 20383890
	v_cmp_u_f32_e64 s[78:79], v31, v31                         // 00000000A4AC: D048004E 00023F1F
	v_bfe_u32 v248, v31, 16, 1                                 // 00000000A4B4: D1C800F8 0205211F
	v_add3_u32 v248, v31, v248, v251                           // 00000000A4BC: D1FF00F8 07EFF11F
	v_cndmask_b32_e64 v29, v248, v250, s[78:79]                // 00000000A4C4: D100001D 013BF5F8
	v_and_or_b32 v171, v29, v249, v28                          // 00000000A4CC: D20100AB 0473F31D
	v_mov_b32_e32 v30, v192                                    // 00000000A4D4: 7E3C03C0
	v_mov_b32_e32 v31, v193                                    // 00000000A4D8: 7E3E03C1
	v_cmp_u_f32_e64 s[78:79], v30, v30                         // 00000000A4DC: D048004E 00023D1E
	v_bfe_u32 v248, v30, 16, 1                                 // 00000000A4E4: D1C800F8 0205211E
	v_add3_u32 v248, v30, v248, v251                           // 00000000A4EC: D1FF00F8 07EFF11E
	v_cndmask_b32_e64 v28, v248, v250, s[78:79]                // 00000000A4F4: D100001C 013BF5F8
	v_lshrrev_b32_e32 v28, 16, v28                             // 00000000A4FC: 20383890
	v_cmp_u_f32_e64 s[78:79], v31, v31                         // 00000000A500: D048004E 00023F1F
	v_bfe_u32 v248, v31, 16, 1                                 // 00000000A508: D1C800F8 0205211F
	v_add3_u32 v248, v31, v248, v251                           // 00000000A510: D1FF00F8 07EFF11F
	v_cndmask_b32_e64 v29, v248, v250, s[78:79]                // 00000000A518: D100001D 013BF5F8
	v_and_or_b32 v172, v29, v249, v28                          // 00000000A520: D20100AC 0473F31D
	v_mov_b32_e32 v30, v194                                    // 00000000A528: 7E3C03C2
	v_mov_b32_e32 v31, v195                                    // 00000000A52C: 7E3E03C3
	v_cmp_u_f32_e64 s[78:79], v30, v30                         // 00000000A530: D048004E 00023D1E
	v_bfe_u32 v248, v30, 16, 1                                 // 00000000A538: D1C800F8 0205211E
	v_add3_u32 v248, v30, v248, v251                           // 00000000A540: D1FF00F8 07EFF11E
	v_cndmask_b32_e64 v28, v248, v250, s[78:79]                // 00000000A548: D100001C 013BF5F8
	v_lshrrev_b32_e32 v28, 16, v28                             // 00000000A550: 20383890
	v_cmp_u_f32_e64 s[78:79], v31, v31                         // 00000000A554: D048004E 00023F1F
	v_bfe_u32 v248, v31, 16, 1                                 // 00000000A55C: D1C800F8 0205211F
	v_add3_u32 v248, v31, v248, v251                           // 00000000A564: D1FF00F8 07EFF11F
	v_cndmask_b32_e64 v29, v248, v250, s[78:79]                // 00000000A56C: D100001D 013BF5F8
	v_and_or_b32 v173, v29, v249, v28                          // 00000000A574: D20100AD 0473F31D
	v_mov_b32_e32 v30, v196                                    // 00000000A57C: 7E3C03C4
	v_mov_b32_e32 v31, v197                                    // 00000000A580: 7E3E03C5
	v_cmp_u_f32_e64 s[78:79], v30, v30                         // 00000000A584: D048004E 00023D1E
	v_bfe_u32 v248, v30, 16, 1                                 // 00000000A58C: D1C800F8 0205211E
	v_add3_u32 v248, v30, v248, v251                           // 00000000A594: D1FF00F8 07EFF11E
	v_cndmask_b32_e64 v28, v248, v250, s[78:79]                // 00000000A59C: D100001C 013BF5F8
	v_lshrrev_b32_e32 v28, 16, v28                             // 00000000A5A4: 20383890
	v_cmp_u_f32_e64 s[78:79], v31, v31                         // 00000000A5A8: D048004E 00023F1F
	v_bfe_u32 v248, v31, 16, 1                                 // 00000000A5B0: D1C800F8 0205211F
	v_add3_u32 v248, v31, v248, v251                           // 00000000A5B8: D1FF00F8 07EFF11F
	v_cndmask_b32_e64 v29, v248, v250, s[78:79]                // 00000000A5C0: D100001D 013BF5F8
	v_and_or_b32 v174, v29, v249, v28                          // 00000000A5C8: D20100AE 0473F31D
	v_mov_b32_e32 v30, v198                                    // 00000000A5D0: 7E3C03C6
	v_mov_b32_e32 v31, v199                                    // 00000000A5D4: 7E3E03C7
	v_cmp_u_f32_e64 s[78:79], v30, v30                         // 00000000A5D8: D048004E 00023D1E
	v_bfe_u32 v248, v30, 16, 1                                 // 00000000A5E0: D1C800F8 0205211E
	v_add3_u32 v248, v30, v248, v251                           // 00000000A5E8: D1FF00F8 07EFF11E
	v_cndmask_b32_e64 v28, v248, v250, s[78:79]                // 00000000A5F0: D100001C 013BF5F8
	v_lshrrev_b32_e32 v28, 16, v28                             // 00000000A5F8: 20383890
	v_cmp_u_f32_e64 s[78:79], v31, v31                         // 00000000A5FC: D048004E 00023F1F
	v_bfe_u32 v248, v31, 16, 1                                 // 00000000A604: D1C800F8 0205211F
	v_add3_u32 v248, v31, v248, v251                           // 00000000A60C: D1FF00F8 07EFF11F
	v_cndmask_b32_e64 v29, v248, v250, s[78:79]                // 00000000A614: D100001D 013BF5F8
	v_and_or_b32 v175, v29, v249, v28                          // 00000000A61C: D20100AF 0473F31D
	v_mov_b32_e32 v30, v200                                    // 00000000A624: 7E3C03C8
	v_mov_b32_e32 v31, v201                                    // 00000000A628: 7E3E03C9
	v_cmp_u_f32_e64 s[78:79], v30, v30                         // 00000000A62C: D048004E 00023D1E
	v_bfe_u32 v248, v30, 16, 1                                 // 00000000A634: D1C800F8 0205211E
	v_add3_u32 v248, v30, v248, v251                           // 00000000A63C: D1FF00F8 07EFF11E
	v_cndmask_b32_e64 v28, v248, v250, s[78:79]                // 00000000A644: D100001C 013BF5F8
	v_lshrrev_b32_e32 v28, 16, v28                             // 00000000A64C: 20383890
	v_cmp_u_f32_e64 s[78:79], v31, v31                         // 00000000A650: D048004E 00023F1F
	v_bfe_u32 v248, v31, 16, 1                                 // 00000000A658: D1C800F8 0205211F
	v_add3_u32 v248, v31, v248, v251                           // 00000000A660: D1FF00F8 07EFF11F
	v_cndmask_b32_e64 v29, v248, v250, s[78:79]                // 00000000A668: D100001D 013BF5F8
	v_and_or_b32 v176, v29, v249, v28                          // 00000000A670: D20100B0 0473F31D
	v_mov_b32_e32 v30, v202                                    // 00000000A678: 7E3C03CA
	v_mov_b32_e32 v31, v203                                    // 00000000A67C: 7E3E03CB
	v_cmp_u_f32_e64 s[78:79], v30, v30                         // 00000000A680: D048004E 00023D1E
	v_bfe_u32 v248, v30, 16, 1                                 // 00000000A688: D1C800F8 0205211E
	v_add3_u32 v248, v30, v248, v251                           // 00000000A690: D1FF00F8 07EFF11E
	v_cndmask_b32_e64 v28, v248, v250, s[78:79]                // 00000000A698: D100001C 013BF5F8
	v_lshrrev_b32_e32 v28, 16, v28                             // 00000000A6A0: 20383890
	v_cmp_u_f32_e64 s[78:79], v31, v31                         // 00000000A6A4: D048004E 00023F1F
	v_bfe_u32 v248, v31, 16, 1                                 // 00000000A6AC: D1C800F8 0205211F
	v_add3_u32 v248, v31, v248, v251                           // 00000000A6B4: D1FF00F8 07EFF11F
	v_cndmask_b32_e64 v29, v248, v250, s[78:79]                // 00000000A6BC: D100001D 013BF5F8
	v_and_or_b32 v177, v29, v249, v28                          // 00000000A6C4: D20100B1 0473F31D
	v_mov_b32_e32 v30, v204                                    // 00000000A6CC: 7E3C03CC
	v_mov_b32_e32 v31, v205                                    // 00000000A6D0: 7E3E03CD
	v_cmp_u_f32_e64 s[78:79], v30, v30                         // 00000000A6D4: D048004E 00023D1E
	v_bfe_u32 v248, v30, 16, 1                                 // 00000000A6DC: D1C800F8 0205211E
	v_add3_u32 v248, v30, v248, v251                           // 00000000A6E4: D1FF00F8 07EFF11E
	v_cndmask_b32_e64 v28, v248, v250, s[78:79]                // 00000000A6EC: D100001C 013BF5F8
	v_lshrrev_b32_e32 v28, 16, v28                             // 00000000A6F4: 20383890
	v_cmp_u_f32_e64 s[78:79], v31, v31                         // 00000000A6F8: D048004E 00023F1F
	v_bfe_u32 v248, v31, 16, 1                                 // 00000000A700: D1C800F8 0205211F
	v_add3_u32 v248, v31, v248, v251                           // 00000000A708: D1FF00F8 07EFF11F
	v_cndmask_b32_e64 v29, v248, v250, s[78:79]                // 00000000A710: D100001D 013BF5F8
	v_and_or_b32 v178, v29, v249, v28                          // 00000000A718: D20100B2 0473F31D
	v_mov_b32_e32 v30, v206                                    // 00000000A720: 7E3C03CE
	v_mov_b32_e32 v31, v207                                    // 00000000A724: 7E3E03CF
	v_cmp_u_f32_e64 s[78:79], v30, v30                         // 00000000A728: D048004E 00023D1E
	v_bfe_u32 v248, v30, 16, 1                                 // 00000000A730: D1C800F8 0205211E
	v_add3_u32 v248, v30, v248, v251                           // 00000000A738: D1FF00F8 07EFF11E
	v_cndmask_b32_e64 v28, v248, v250, s[78:79]                // 00000000A740: D100001C 013BF5F8
	v_lshrrev_b32_e32 v28, 16, v28                             // 00000000A748: 20383890
	v_cmp_u_f32_e64 s[78:79], v31, v31                         // 00000000A74C: D048004E 00023F1F
	v_bfe_u32 v248, v31, 16, 1                                 // 00000000A754: D1C800F8 0205211F
	v_add3_u32 v248, v31, v248, v251                           // 00000000A75C: D1FF00F8 07EFF11F
	v_cndmask_b32_e64 v29, v248, v250, s[78:79]                // 00000000A764: D100001D 013BF5F8
	v_and_or_b32 v179, v29, v249, v28                          // 00000000A76C: D20100B3 0473F31D
	v_mov_b32_e32 v30, v208                                    // 00000000A774: 7E3C03D0
	v_mov_b32_e32 v31, v209                                    // 00000000A778: 7E3E03D1
	v_cmp_u_f32_e64 s[78:79], v30, v30                         // 00000000A77C: D048004E 00023D1E
	v_bfe_u32 v248, v30, 16, 1                                 // 00000000A784: D1C800F8 0205211E
	v_add3_u32 v248, v30, v248, v251                           // 00000000A78C: D1FF00F8 07EFF11E
	v_cndmask_b32_e64 v28, v248, v250, s[78:79]                // 00000000A794: D100001C 013BF5F8
	v_lshrrev_b32_e32 v28, 16, v28                             // 00000000A79C: 20383890
	v_cmp_u_f32_e64 s[78:79], v31, v31                         // 00000000A7A0: D048004E 00023F1F
	v_bfe_u32 v248, v31, 16, 1                                 // 00000000A7A8: D1C800F8 0205211F
	v_add3_u32 v248, v31, v248, v251                           // 00000000A7B0: D1FF00F8 07EFF11F
	v_cndmask_b32_e64 v29, v248, v250, s[78:79]                // 00000000A7B8: D100001D 013BF5F8
	v_and_or_b32 v180, v29, v249, v28                          // 00000000A7C0: D20100B4 0473F31D
	v_mov_b32_e32 v30, v210                                    // 00000000A7C8: 7E3C03D2
	v_mov_b32_e32 v31, v211                                    // 00000000A7CC: 7E3E03D3
	v_cmp_u_f32_e64 s[78:79], v30, v30                         // 00000000A7D0: D048004E 00023D1E
	v_bfe_u32 v248, v30, 16, 1                                 // 00000000A7D8: D1C800F8 0205211E
	v_add3_u32 v248, v30, v248, v251                           // 00000000A7E0: D1FF00F8 07EFF11E
	v_cndmask_b32_e64 v28, v248, v250, s[78:79]                // 00000000A7E8: D100001C 013BF5F8
	v_lshrrev_b32_e32 v28, 16, v28                             // 00000000A7F0: 20383890
	v_cmp_u_f32_e64 s[78:79], v31, v31                         // 00000000A7F4: D048004E 00023F1F
	v_bfe_u32 v248, v31, 16, 1                                 // 00000000A7FC: D1C800F8 0205211F
	v_add3_u32 v248, v31, v248, v251                           // 00000000A804: D1FF00F8 07EFF11F
	v_cndmask_b32_e64 v29, v248, v250, s[78:79]                // 00000000A80C: D100001D 013BF5F8
	v_and_or_b32 v181, v29, v249, v28                          // 00000000A814: D20100B5 0473F31D
	v_mov_b32_e32 v30, v212                                    // 00000000A81C: 7E3C03D4
	v_mov_b32_e32 v31, v213                                    // 00000000A820: 7E3E03D5
	v_cmp_u_f32_e64 s[78:79], v30, v30                         // 00000000A824: D048004E 00023D1E
	v_bfe_u32 v248, v30, 16, 1                                 // 00000000A82C: D1C800F8 0205211E
	v_add3_u32 v248, v30, v248, v251                           // 00000000A834: D1FF00F8 07EFF11E
	v_cndmask_b32_e64 v28, v248, v250, s[78:79]                // 00000000A83C: D100001C 013BF5F8
	v_lshrrev_b32_e32 v28, 16, v28                             // 00000000A844: 20383890
	v_cmp_u_f32_e64 s[78:79], v31, v31                         // 00000000A848: D048004E 00023F1F
	v_bfe_u32 v248, v31, 16, 1                                 // 00000000A850: D1C800F8 0205211F
	v_add3_u32 v248, v31, v248, v251                           // 00000000A858: D1FF00F8 07EFF11F
	v_cndmask_b32_e64 v29, v248, v250, s[78:79]                // 00000000A860: D100001D 013BF5F8
	v_and_or_b32 v182, v29, v249, v28                          // 00000000A868: D20100B6 0473F31D
	v_mov_b32_e32 v30, v214                                    // 00000000A870: 7E3C03D6
	v_mov_b32_e32 v31, v215                                    // 00000000A874: 7E3E03D7
	v_cmp_u_f32_e64 s[78:79], v30, v30                         // 00000000A878: D048004E 00023D1E
	v_bfe_u32 v248, v30, 16, 1                                 // 00000000A880: D1C800F8 0205211E
	v_add3_u32 v248, v30, v248, v251                           // 00000000A888: D1FF00F8 07EFF11E
	v_cndmask_b32_e64 v28, v248, v250, s[78:79]                // 00000000A890: D100001C 013BF5F8
	v_lshrrev_b32_e32 v28, 16, v28                             // 00000000A898: 20383890
	v_cmp_u_f32_e64 s[78:79], v31, v31                         // 00000000A89C: D048004E 00023F1F
	v_bfe_u32 v248, v31, 16, 1                                 // 00000000A8A4: D1C800F8 0205211F
	v_add3_u32 v248, v31, v248, v251                           // 00000000A8AC: D1FF00F8 07EFF11F
	v_cndmask_b32_e64 v29, v248, v250, s[78:79]                // 00000000A8B4: D100001D 013BF5F8
	v_and_or_b32 v183, v29, v249, v28                          // 00000000A8BC: D20100B7 0473F31D
	ds_write_b64 v27, v[168:169] offset:16896                  // 00000000A8C4: D89A4200 0000A81B
	ds_write_b64 v27, v[170:171] offset:17424                  // 00000000A8CC: D89A4410 0000AA1B
	ds_write_b64 v27, v[172:173] offset:17952                  // 00000000A8D4: D89A4620 0000AC1B
	ds_write_b64 v27, v[174:175] offset:18480                  // 00000000A8DC: D89A4830 0000AE1B
	ds_write_b64 v27, v[176:177] offset:19008                  // 00000000A8E4: D89A4A40 0000B01B
	ds_write_b64 v27, v[178:179] offset:19536                  // 00000000A8EC: D89A4C50 0000B21B
	ds_write_b64 v27, v[180:181] offset:20064                  // 00000000A8F4: D89A4E60 0000B41B
	ds_write_b64 v27, v[182:183] offset:20592                  // 00000000A8FC: D89A5070 0000B61B
	s_waitcnt lgkmcnt(0)                                       // 00000000A904: BF8CC07F
	s_barrier                                                  // 00000000A908: BF8A0000
	ds_read_b64 v[168:169], v26 offset:16896                   // 00000000A90C: D8EC4200 A800001A
	ds_read_b64 v[170:171], v26 offset:17024                   // 00000000A914: D8EC4280 AA00001A
	ds_read_b64 v[172:173], v26 offset:16928                   // 00000000A91C: D8EC4220 AC00001A
	ds_read_b64 v[174:175], v26 offset:17056                   // 00000000A924: D8EC42A0 AE00001A
	ds_read_b64 v[176:177], v26 offset:16960                   // 00000000A92C: D8EC4240 B000001A
	ds_read_b64 v[178:179], v26 offset:17088                   // 00000000A934: D8EC42C0 B200001A
	ds_read_b64 v[180:181], v26 offset:16992                   // 00000000A93C: D8EC4260 B400001A
	ds_read_b64 v[182:183], v26 offset:17120                   // 00000000A944: D8EC42E0 B600001A
	s_waitcnt lgkmcnt(0)                                       // 00000000A94C: BF8CC07F
	buffer_store_dwordx4 v[168:171], v10, s[40:43], 0 idxen    // 00000000A950: E07C2000 800AA80A
	v_add_u32_e32 v10, s46, v10                                // 00000000A958: 6814142E
	buffer_store_dwordx4 v[172:175], v10, s[40:43], 0 idxen    // 00000000A95C: E07C2000 800AAC0A
	v_add_u32_e32 v10, s46, v10                                // 00000000A964: 6814142E
	buffer_store_dwordx4 v[176:179], v10, s[40:43], 0 idxen    // 00000000A968: E07C2000 800AB00A
	v_add_u32_e32 v10, s46, v10                                // 00000000A970: 6814142E
	buffer_store_dwordx4 v[180:183], v10, s[40:43], 0 idxen    // 00000000A974: E07C2000 800AB40A
	v_add_u32_e32 v10, s46, v10                                // 00000000A97C: 6814142E
	s_mul_i32 s60, 12, s46                                     // 00000000A980: 923C2E8C
	v_add_u32_e32 v10, s60, v10                                // 00000000A984: 6814143C
	s_cmp_ge_i32 2, s72                                        // 00000000A988: BF034882
	s_cbranch_scc1 label_1C67                                  // 00000000A98C: BF850183
	v_mov_b32_e32 v30, v216                                    // 00000000A990: 7E3C03D8
	v_mov_b32_e32 v31, v217                                    // 00000000A994: 7E3E03D9
	v_cmp_u_f32_e64 s[78:79], v30, v30                         // 00000000A998: D048004E 00023D1E
	v_bfe_u32 v248, v30, 16, 1                                 // 00000000A9A0: D1C800F8 0205211E
	v_add3_u32 v248, v30, v248, v251                           // 00000000A9A8: D1FF00F8 07EFF11E
	v_cndmask_b32_e64 v28, v248, v250, s[78:79]                // 00000000A9B0: D100001C 013BF5F8
	v_lshrrev_b32_e32 v28, 16, v28                             // 00000000A9B8: 20383890
	v_cmp_u_f32_e64 s[78:79], v31, v31                         // 00000000A9BC: D048004E 00023F1F
	v_bfe_u32 v248, v31, 16, 1                                 // 00000000A9C4: D1C800F8 0205211F
	v_add3_u32 v248, v31, v248, v251                           // 00000000A9CC: D1FF00F8 07EFF11F
	v_cndmask_b32_e64 v29, v248, v250, s[78:79]                // 00000000A9D4: D100001D 013BF5F8
	v_and_or_b32 v184, v29, v249, v28                          // 00000000A9DC: D20100B8 0473F31D
	v_mov_b32_e32 v30, v218                                    // 00000000A9E4: 7E3C03DA
	v_mov_b32_e32 v31, v219                                    // 00000000A9E8: 7E3E03DB
	v_cmp_u_f32_e64 s[78:79], v30, v30                         // 00000000A9EC: D048004E 00023D1E
	v_bfe_u32 v248, v30, 16, 1                                 // 00000000A9F4: D1C800F8 0205211E
	v_add3_u32 v248, v30, v248, v251                           // 00000000A9FC: D1FF00F8 07EFF11E
	v_cndmask_b32_e64 v28, v248, v250, s[78:79]                // 00000000AA04: D100001C 013BF5F8
	v_lshrrev_b32_e32 v28, 16, v28                             // 00000000AA0C: 20383890
	v_cmp_u_f32_e64 s[78:79], v31, v31                         // 00000000AA10: D048004E 00023F1F
	v_bfe_u32 v248, v31, 16, 1                                 // 00000000AA18: D1C800F8 0205211F
	v_add3_u32 v248, v31, v248, v251                           // 00000000AA20: D1FF00F8 07EFF11F
	v_cndmask_b32_e64 v29, v248, v250, s[78:79]                // 00000000AA28: D100001D 013BF5F8
	v_and_or_b32 v185, v29, v249, v28                          // 00000000AA30: D20100B9 0473F31D
	v_mov_b32_e32 v30, v220                                    // 00000000AA38: 7E3C03DC
	v_mov_b32_e32 v31, v221                                    // 00000000AA3C: 7E3E03DD
	v_cmp_u_f32_e64 s[78:79], v30, v30                         // 00000000AA40: D048004E 00023D1E
	v_bfe_u32 v248, v30, 16, 1                                 // 00000000AA48: D1C800F8 0205211E
	v_add3_u32 v248, v30, v248, v251                           // 00000000AA50: D1FF00F8 07EFF11E
	v_cndmask_b32_e64 v28, v248, v250, s[78:79]                // 00000000AA58: D100001C 013BF5F8
	v_lshrrev_b32_e32 v28, 16, v28                             // 00000000AA60: 20383890
	v_cmp_u_f32_e64 s[78:79], v31, v31                         // 00000000AA64: D048004E 00023F1F
	v_bfe_u32 v248, v31, 16, 1                                 // 00000000AA6C: D1C800F8 0205211F
	v_add3_u32 v248, v31, v248, v251                           // 00000000AA74: D1FF00F8 07EFF11F
	v_cndmask_b32_e64 v29, v248, v250, s[78:79]                // 00000000AA7C: D100001D 013BF5F8
	v_and_or_b32 v186, v29, v249, v28                          // 00000000AA84: D20100BA 0473F31D
	v_mov_b32_e32 v30, v222                                    // 00000000AA8C: 7E3C03DE
	v_mov_b32_e32 v31, v223                                    // 00000000AA90: 7E3E03DF
	v_cmp_u_f32_e64 s[78:79], v30, v30                         // 00000000AA94: D048004E 00023D1E
	v_bfe_u32 v248, v30, 16, 1                                 // 00000000AA9C: D1C800F8 0205211E
	v_add3_u32 v248, v30, v248, v251                           // 00000000AAA4: D1FF00F8 07EFF11E
	v_cndmask_b32_e64 v28, v248, v250, s[78:79]                // 00000000AAAC: D100001C 013BF5F8
	v_lshrrev_b32_e32 v28, 16, v28                             // 00000000AAB4: 20383890
	v_cmp_u_f32_e64 s[78:79], v31, v31                         // 00000000AAB8: D048004E 00023F1F
	v_bfe_u32 v248, v31, 16, 1                                 // 00000000AAC0: D1C800F8 0205211F
	v_add3_u32 v248, v31, v248, v251                           // 00000000AAC8: D1FF00F8 07EFF11F
	v_cndmask_b32_e64 v29, v248, v250, s[78:79]                // 00000000AAD0: D100001D 013BF5F8
	v_and_or_b32 v187, v29, v249, v28                          // 00000000AAD8: D20100BB 0473F31D
	v_mov_b32_e32 v30, v224                                    // 00000000AAE0: 7E3C03E0
	v_mov_b32_e32 v31, v225                                    // 00000000AAE4: 7E3E03E1
	v_cmp_u_f32_e64 s[78:79], v30, v30                         // 00000000AAE8: D048004E 00023D1E
	v_bfe_u32 v248, v30, 16, 1                                 // 00000000AAF0: D1C800F8 0205211E
	v_add3_u32 v248, v30, v248, v251                           // 00000000AAF8: D1FF00F8 07EFF11E
	v_cndmask_b32_e64 v28, v248, v250, s[78:79]                // 00000000AB00: D100001C 013BF5F8
	v_lshrrev_b32_e32 v28, 16, v28                             // 00000000AB08: 20383890
	v_cmp_u_f32_e64 s[78:79], v31, v31                         // 00000000AB0C: D048004E 00023F1F
	v_bfe_u32 v248, v31, 16, 1                                 // 00000000AB14: D1C800F8 0205211F
	v_add3_u32 v248, v31, v248, v251                           // 00000000AB1C: D1FF00F8 07EFF11F
	v_cndmask_b32_e64 v29, v248, v250, s[78:79]                // 00000000AB24: D100001D 013BF5F8
	v_and_or_b32 v188, v29, v249, v28                          // 00000000AB2C: D20100BC 0473F31D
	v_mov_b32_e32 v30, v226                                    // 00000000AB34: 7E3C03E2
	v_mov_b32_e32 v31, v227                                    // 00000000AB38: 7E3E03E3
	v_cmp_u_f32_e64 s[78:79], v30, v30                         // 00000000AB3C: D048004E 00023D1E
	v_bfe_u32 v248, v30, 16, 1                                 // 00000000AB44: D1C800F8 0205211E
	v_add3_u32 v248, v30, v248, v251                           // 00000000AB4C: D1FF00F8 07EFF11E
	v_cndmask_b32_e64 v28, v248, v250, s[78:79]                // 00000000AB54: D100001C 013BF5F8
	v_lshrrev_b32_e32 v28, 16, v28                             // 00000000AB5C: 20383890
	v_cmp_u_f32_e64 s[78:79], v31, v31                         // 00000000AB60: D048004E 00023F1F
	v_bfe_u32 v248, v31, 16, 1                                 // 00000000AB68: D1C800F8 0205211F
	v_add3_u32 v248, v31, v248, v251                           // 00000000AB70: D1FF00F8 07EFF11F
	v_cndmask_b32_e64 v29, v248, v250, s[78:79]                // 00000000AB78: D100001D 013BF5F8
	v_and_or_b32 v189, v29, v249, v28                          // 00000000AB80: D20100BD 0473F31D
	v_mov_b32_e32 v30, v228                                    // 00000000AB88: 7E3C03E4
	v_mov_b32_e32 v31, v229                                    // 00000000AB8C: 7E3E03E5
	v_cmp_u_f32_e64 s[78:79], v30, v30                         // 00000000AB90: D048004E 00023D1E
	v_bfe_u32 v248, v30, 16, 1                                 // 00000000AB98: D1C800F8 0205211E
	v_add3_u32 v248, v30, v248, v251                           // 00000000ABA0: D1FF00F8 07EFF11E
	v_cndmask_b32_e64 v28, v248, v250, s[78:79]                // 00000000ABA8: D100001C 013BF5F8
	v_lshrrev_b32_e32 v28, 16, v28                             // 00000000ABB0: 20383890
	v_cmp_u_f32_e64 s[78:79], v31, v31                         // 00000000ABB4: D048004E 00023F1F
	v_bfe_u32 v248, v31, 16, 1                                 // 00000000ABBC: D1C800F8 0205211F
	v_add3_u32 v248, v31, v248, v251                           // 00000000ABC4: D1FF00F8 07EFF11F
	v_cndmask_b32_e64 v29, v248, v250, s[78:79]                // 00000000ABCC: D100001D 013BF5F8
	v_and_or_b32 v190, v29, v249, v28                          // 00000000ABD4: D20100BE 0473F31D
	v_mov_b32_e32 v30, v230                                    // 00000000ABDC: 7E3C03E6
	v_mov_b32_e32 v31, v231                                    // 00000000ABE0: 7E3E03E7
	v_cmp_u_f32_e64 s[78:79], v30, v30                         // 00000000ABE4: D048004E 00023D1E
	v_bfe_u32 v248, v30, 16, 1                                 // 00000000ABEC: D1C800F8 0205211E
	v_add3_u32 v248, v30, v248, v251                           // 00000000ABF4: D1FF00F8 07EFF11E
	v_cndmask_b32_e64 v28, v248, v250, s[78:79]                // 00000000ABFC: D100001C 013BF5F8
	v_lshrrev_b32_e32 v28, 16, v28                             // 00000000AC04: 20383890
	v_cmp_u_f32_e64 s[78:79], v31, v31                         // 00000000AC08: D048004E 00023F1F
	v_bfe_u32 v248, v31, 16, 1                                 // 00000000AC10: D1C800F8 0205211F
	v_add3_u32 v248, v31, v248, v251                           // 00000000AC18: D1FF00F8 07EFF11F
	v_cndmask_b32_e64 v29, v248, v250, s[78:79]                // 00000000AC20: D100001D 013BF5F8
	v_and_or_b32 v191, v29, v249, v28                          // 00000000AC28: D20100BF 0473F31D
	v_mov_b32_e32 v30, v232                                    // 00000000AC30: 7E3C03E8
	v_mov_b32_e32 v31, v233                                    // 00000000AC34: 7E3E03E9
	v_cmp_u_f32_e64 s[78:79], v30, v30                         // 00000000AC38: D048004E 00023D1E
	v_bfe_u32 v248, v30, 16, 1                                 // 00000000AC40: D1C800F8 0205211E
	v_add3_u32 v248, v30, v248, v251                           // 00000000AC48: D1FF00F8 07EFF11E
	v_cndmask_b32_e64 v28, v248, v250, s[78:79]                // 00000000AC50: D100001C 013BF5F8
	v_lshrrev_b32_e32 v28, 16, v28                             // 00000000AC58: 20383890
	v_cmp_u_f32_e64 s[78:79], v31, v31                         // 00000000AC5C: D048004E 00023F1F
	v_bfe_u32 v248, v31, 16, 1                                 // 00000000AC64: D1C800F8 0205211F
	v_add3_u32 v248, v31, v248, v251                           // 00000000AC6C: D1FF00F8 07EFF11F
	v_cndmask_b32_e64 v29, v248, v250, s[78:79]                // 00000000AC74: D100001D 013BF5F8
	v_and_or_b32 v192, v29, v249, v28                          // 00000000AC7C: D20100C0 0473F31D
	v_mov_b32_e32 v30, v234                                    // 00000000AC84: 7E3C03EA
	v_mov_b32_e32 v31, v235                                    // 00000000AC88: 7E3E03EB
	v_cmp_u_f32_e64 s[78:79], v30, v30                         // 00000000AC8C: D048004E 00023D1E
	v_bfe_u32 v248, v30, 16, 1                                 // 00000000AC94: D1C800F8 0205211E
	v_add3_u32 v248, v30, v248, v251                           // 00000000AC9C: D1FF00F8 07EFF11E
	v_cndmask_b32_e64 v28, v248, v250, s[78:79]                // 00000000ACA4: D100001C 013BF5F8
	v_lshrrev_b32_e32 v28, 16, v28                             // 00000000ACAC: 20383890
	v_cmp_u_f32_e64 s[78:79], v31, v31                         // 00000000ACB0: D048004E 00023F1F
	v_bfe_u32 v248, v31, 16, 1                                 // 00000000ACB8: D1C800F8 0205211F
	v_add3_u32 v248, v31, v248, v251                           // 00000000ACC0: D1FF00F8 07EFF11F
	v_cndmask_b32_e64 v29, v248, v250, s[78:79]                // 00000000ACC8: D100001D 013BF5F8
	v_and_or_b32 v193, v29, v249, v28                          // 00000000ACD0: D20100C1 0473F31D
	v_mov_b32_e32 v30, v236                                    // 00000000ACD8: 7E3C03EC
	v_mov_b32_e32 v31, v237                                    // 00000000ACDC: 7E3E03ED
	v_cmp_u_f32_e64 s[78:79], v30, v30                         // 00000000ACE0: D048004E 00023D1E
	v_bfe_u32 v248, v30, 16, 1                                 // 00000000ACE8: D1C800F8 0205211E
	v_add3_u32 v248, v30, v248, v251                           // 00000000ACF0: D1FF00F8 07EFF11E
	v_cndmask_b32_e64 v28, v248, v250, s[78:79]                // 00000000ACF8: D100001C 013BF5F8
	v_lshrrev_b32_e32 v28, 16, v28                             // 00000000AD00: 20383890
	v_cmp_u_f32_e64 s[78:79], v31, v31                         // 00000000AD04: D048004E 00023F1F
	v_bfe_u32 v248, v31, 16, 1                                 // 00000000AD0C: D1C800F8 0205211F
	v_add3_u32 v248, v31, v248, v251                           // 00000000AD14: D1FF00F8 07EFF11F
	v_cndmask_b32_e64 v29, v248, v250, s[78:79]                // 00000000AD1C: D100001D 013BF5F8
	v_and_or_b32 v194, v29, v249, v28                          // 00000000AD24: D20100C2 0473F31D
	v_mov_b32_e32 v30, v238                                    // 00000000AD2C: 7E3C03EE
	v_mov_b32_e32 v31, v239                                    // 00000000AD30: 7E3E03EF
	v_cmp_u_f32_e64 s[78:79], v30, v30                         // 00000000AD34: D048004E 00023D1E
	v_bfe_u32 v248, v30, 16, 1                                 // 00000000AD3C: D1C800F8 0205211E
	v_add3_u32 v248, v30, v248, v251                           // 00000000AD44: D1FF00F8 07EFF11E
	v_cndmask_b32_e64 v28, v248, v250, s[78:79]                // 00000000AD4C: D100001C 013BF5F8
	v_lshrrev_b32_e32 v28, 16, v28                             // 00000000AD54: 20383890
	v_cmp_u_f32_e64 s[78:79], v31, v31                         // 00000000AD58: D048004E 00023F1F
	v_bfe_u32 v248, v31, 16, 1                                 // 00000000AD60: D1C800F8 0205211F
	v_add3_u32 v248, v31, v248, v251                           // 00000000AD68: D1FF00F8 07EFF11F
	v_cndmask_b32_e64 v29, v248, v250, s[78:79]                // 00000000AD70: D100001D 013BF5F8
	v_and_or_b32 v195, v29, v249, v28                          // 00000000AD78: D20100C3 0473F31D
	v_mov_b32_e32 v30, v240                                    // 00000000AD80: 7E3C03F0
	v_mov_b32_e32 v31, v241                                    // 00000000AD84: 7E3E03F1
	v_cmp_u_f32_e64 s[78:79], v30, v30                         // 00000000AD88: D048004E 00023D1E
	v_bfe_u32 v248, v30, 16, 1                                 // 00000000AD90: D1C800F8 0205211E
	v_add3_u32 v248, v30, v248, v251                           // 00000000AD98: D1FF00F8 07EFF11E
	v_cndmask_b32_e64 v28, v248, v250, s[78:79]                // 00000000ADA0: D100001C 013BF5F8
	v_lshrrev_b32_e32 v28, 16, v28                             // 00000000ADA8: 20383890
	v_cmp_u_f32_e64 s[78:79], v31, v31                         // 00000000ADAC: D048004E 00023F1F
	v_bfe_u32 v248, v31, 16, 1                                 // 00000000ADB4: D1C800F8 0205211F
	v_add3_u32 v248, v31, v248, v251                           // 00000000ADBC: D1FF00F8 07EFF11F
	v_cndmask_b32_e64 v29, v248, v250, s[78:79]                // 00000000ADC4: D100001D 013BF5F8
	v_and_or_b32 v196, v29, v249, v28                          // 00000000ADCC: D20100C4 0473F31D
	v_mov_b32_e32 v30, v242                                    // 00000000ADD4: 7E3C03F2
	v_mov_b32_e32 v31, v243                                    // 00000000ADD8: 7E3E03F3
	v_cmp_u_f32_e64 s[78:79], v30, v30                         // 00000000ADDC: D048004E 00023D1E
	v_bfe_u32 v248, v30, 16, 1                                 // 00000000ADE4: D1C800F8 0205211E
	v_add3_u32 v248, v30, v248, v251                           // 00000000ADEC: D1FF00F8 07EFF11E
	v_cndmask_b32_e64 v28, v248, v250, s[78:79]                // 00000000ADF4: D100001C 013BF5F8
	v_lshrrev_b32_e32 v28, 16, v28                             // 00000000ADFC: 20383890
	v_cmp_u_f32_e64 s[78:79], v31, v31                         // 00000000AE00: D048004E 00023F1F
	v_bfe_u32 v248, v31, 16, 1                                 // 00000000AE08: D1C800F8 0205211F
	v_add3_u32 v248, v31, v248, v251                           // 00000000AE10: D1FF00F8 07EFF11F
	v_cndmask_b32_e64 v29, v248, v250, s[78:79]                // 00000000AE18: D100001D 013BF5F8
	v_and_or_b32 v197, v29, v249, v28                          // 00000000AE20: D20100C5 0473F31D
	v_mov_b32_e32 v30, v244                                    // 00000000AE28: 7E3C03F4
	v_mov_b32_e32 v31, v245                                    // 00000000AE2C: 7E3E03F5
	v_cmp_u_f32_e64 s[78:79], v30, v30                         // 00000000AE30: D048004E 00023D1E
	v_bfe_u32 v248, v30, 16, 1                                 // 00000000AE38: D1C800F8 0205211E
	v_add3_u32 v248, v30, v248, v251                           // 00000000AE40: D1FF00F8 07EFF11E
	v_cndmask_b32_e64 v28, v248, v250, s[78:79]                // 00000000AE48: D100001C 013BF5F8
	v_lshrrev_b32_e32 v28, 16, v28                             // 00000000AE50: 20383890
	v_cmp_u_f32_e64 s[78:79], v31, v31                         // 00000000AE54: D048004E 00023F1F
	v_bfe_u32 v248, v31, 16, 1                                 // 00000000AE5C: D1C800F8 0205211F
	v_add3_u32 v248, v31, v248, v251                           // 00000000AE64: D1FF00F8 07EFF11F
	v_cndmask_b32_e64 v29, v248, v250, s[78:79]                // 00000000AE6C: D100001D 013BF5F8
	v_and_or_b32 v198, v29, v249, v28                          // 00000000AE74: D20100C6 0473F31D
	v_mov_b32_e32 v30, v246                                    // 00000000AE7C: 7E3C03F6
	v_mov_b32_e32 v31, v247                                    // 00000000AE80: 7E3E03F7
	v_cmp_u_f32_e64 s[78:79], v30, v30                         // 00000000AE84: D048004E 00023D1E
	v_bfe_u32 v248, v30, 16, 1                                 // 00000000AE8C: D1C800F8 0205211E
	v_add3_u32 v248, v30, v248, v251                           // 00000000AE94: D1FF00F8 07EFF11E
	v_cndmask_b32_e64 v28, v248, v250, s[78:79]                // 00000000AE9C: D100001C 013BF5F8
	v_lshrrev_b32_e32 v28, 16, v28                             // 00000000AEA4: 20383890
	v_cmp_u_f32_e64 s[78:79], v31, v31                         // 00000000AEA8: D048004E 00023F1F
	v_bfe_u32 v248, v31, 16, 1                                 // 00000000AEB0: D1C800F8 0205211F
	v_add3_u32 v248, v31, v248, v251                           // 00000000AEB8: D1FF00F8 07EFF11F
	v_cndmask_b32_e64 v29, v248, v250, s[78:79]                // 00000000AEC0: D100001D 013BF5F8
	v_and_or_b32 v199, v29, v249, v28                          // 00000000AEC8: D20100C7 0473F31D
	ds_write_b64 v27, v[184:185] offset:33792                  // 00000000AED0: D89A8400 0000B81B
	ds_write_b64 v27, v[186:187] offset:34320                  // 00000000AED8: D89A8610 0000BA1B
	ds_write_b64 v27, v[188:189] offset:34848                  // 00000000AEE0: D89A8820 0000BC1B
	ds_write_b64 v27, v[190:191] offset:35376                  // 00000000AEE8: D89A8A30 0000BE1B
	ds_write_b64 v27, v[192:193] offset:35904                  // 00000000AEF0: D89A8C40 0000C01B
	ds_write_b64 v27, v[194:195] offset:36432                  // 00000000AEF8: D89A8E50 0000C21B
	ds_write_b64 v27, v[196:197] offset:36960                  // 00000000AF00: D89A9060 0000C41B
	ds_write_b64 v27, v[198:199] offset:37488                  // 00000000AF08: D89A9270 0000C61B
	s_waitcnt lgkmcnt(0)                                       // 00000000AF10: BF8CC07F
	s_barrier                                                  // 00000000AF14: BF8A0000
	ds_read_b64 v[184:185], v26 offset:33792                   // 00000000AF18: D8EC8400 B800001A
	ds_read_b64 v[186:187], v26 offset:33920                   // 00000000AF20: D8EC8480 BA00001A
	ds_read_b64 v[188:189], v26 offset:33824                   // 00000000AF28: D8EC8420 BC00001A
	ds_read_b64 v[190:191], v26 offset:33952                   // 00000000AF30: D8EC84A0 BE00001A
	ds_read_b64 v[192:193], v26 offset:33856                   // 00000000AF38: D8EC8440 C000001A
	ds_read_b64 v[194:195], v26 offset:33984                   // 00000000AF40: D8EC84C0 C200001A
	ds_read_b64 v[196:197], v26 offset:33888                   // 00000000AF48: D8EC8460 C400001A
	ds_read_b64 v[198:199], v26 offset:34016                   // 00000000AF50: D8EC84E0 C600001A
	s_waitcnt lgkmcnt(0)                                       // 00000000AF58: BF8CC07F
	buffer_store_dwordx4 v[184:187], v10, s[40:43], 0 idxen    // 00000000AF5C: E07C2000 800AB80A
	v_add_u32_e32 v10, s46, v10                                // 00000000AF64: 6814142E
	buffer_store_dwordx4 v[188:191], v10, s[40:43], 0 idxen    // 00000000AF68: E07C2000 800ABC0A
	v_add_u32_e32 v10, s46, v10                                // 00000000AF70: 6814142E
	buffer_store_dwordx4 v[192:195], v10, s[40:43], 0 idxen    // 00000000AF74: E07C2000 800AC00A
	v_add_u32_e32 v10, s46, v10                                // 00000000AF7C: 6814142E
	buffer_store_dwordx4 v[196:199], v10, s[40:43], 0 idxen    // 00000000AF80: E07C2000 800AC40A
	v_add_u32_e32 v10, s46, v10                                // 00000000AF88: 6814142E
	s_mul_i32 s60, 12, s46                                     // 00000000AF8C: 923C2E8C
	v_add_u32_e32 v10, s60, v10                                // 00000000AF90: 6814143C
	s_cmp_ge_i32 3, s72                                        // 00000000AF94: BF034883
	s_cbranch_scc1 label_1C67                                  // 00000000AF98: BF850000

000000000000af9c <label_1C67>:
	s_waitcnt vmcnt(0) expcnt(0) lgkmcnt(0)                    // 00000000AF9C: BF8C0000
	s_mov_b32 s32, s90                                         // 00000000AFA0: BEA0005A
	s_mov_b32 s33, s91                                         // 00000000AFA4: BEA1005B
	s_sub_i32 s60, s77, 1                                      // 00000000AFA8: 81BC814D
	s_sub_i32 s2, s60, s2                                      // 00000000AFAC: 8182023C
	s_addk_i32 s75, 0x1                                        // 00000000AFB0: B74B0001
	s_cmp_lt_i32 s75, s76                                      // 00000000AFB4: BF044C4B
	s_cbranch_scc1 label_00F7                                  // 00000000AFB8: BF85E488
	s_endpgm                                                   // 00000000AFBC: BF810000
